;; amdgpu-corpus repo=ROCm/rocFFT kind=compiled arch=gfx906 opt=O3
	.text
	.amdgcn_target "amdgcn-amd-amdhsa--gfx906"
	.amdhsa_code_object_version 6
	.protected	fft_rtc_back_len1512_factors_2_2_2_3_3_3_7_wgs_63_tpt_63_halfLds_sp_op_CI_CI_sbrr_dirReg ; -- Begin function fft_rtc_back_len1512_factors_2_2_2_3_3_3_7_wgs_63_tpt_63_halfLds_sp_op_CI_CI_sbrr_dirReg
	.globl	fft_rtc_back_len1512_factors_2_2_2_3_3_3_7_wgs_63_tpt_63_halfLds_sp_op_CI_CI_sbrr_dirReg
	.p2align	8
	.type	fft_rtc_back_len1512_factors_2_2_2_3_3_3_7_wgs_63_tpt_63_halfLds_sp_op_CI_CI_sbrr_dirReg,@function
fft_rtc_back_len1512_factors_2_2_2_3_3_3_7_wgs_63_tpt_63_halfLds_sp_op_CI_CI_sbrr_dirReg: ; @fft_rtc_back_len1512_factors_2_2_2_3_3_3_7_wgs_63_tpt_63_halfLds_sp_op_CI_CI_sbrr_dirReg
; %bb.0:
	s_load_dwordx4 s[16:19], s[4:5], 0x18
	s_load_dwordx4 s[8:11], s[4:5], 0x0
	;; [unrolled: 1-line block ×3, first 2 shown]
	v_mul_u32_u24_e32 v1, 0x411, v0
	v_mov_b32_e32 v7, 0
	s_waitcnt lgkmcnt(0)
	s_load_dwordx2 s[20:21], s[16:17], 0x0
	s_load_dwordx2 s[2:3], s[18:19], 0x0
	v_cmp_lt_u64_e64 s[0:1], s[10:11], 2
	v_mov_b32_e32 v5, 0
	v_add_u32_sdwa v9, s6, v1 dst_sel:DWORD dst_unused:UNUSED_PAD src0_sel:DWORD src1_sel:WORD_1
	v_mov_b32_e32 v10, v7
	s_and_b64 vcc, exec, s[0:1]
	v_mov_b32_e32 v6, 0
	s_cbranch_vccnz .LBB0_8
; %bb.1:
	s_load_dwordx2 s[0:1], s[4:5], 0x10
	s_add_u32 s6, s18, 8
	s_addc_u32 s7, s19, 0
	s_add_u32 s22, s16, 8
	s_addc_u32 s23, s17, 0
	v_mov_b32_e32 v5, 0
	s_waitcnt lgkmcnt(0)
	s_add_u32 s24, s0, 8
	v_mov_b32_e32 v6, 0
	v_mov_b32_e32 v1, v5
	s_addc_u32 s25, s1, 0
	s_mov_b64 s[26:27], 1
	v_mov_b32_e32 v2, v6
.LBB0_2:                                ; =>This Inner Loop Header: Depth=1
	s_load_dwordx2 s[28:29], s[24:25], 0x0
                                        ; implicit-def: $vgpr3_vgpr4
	s_waitcnt lgkmcnt(0)
	v_or_b32_e32 v8, s29, v10
	v_cmp_ne_u64_e32 vcc, 0, v[7:8]
	s_and_saveexec_b64 s[0:1], vcc
	s_xor_b64 s[30:31], exec, s[0:1]
	s_cbranch_execz .LBB0_4
; %bb.3:                                ;   in Loop: Header=BB0_2 Depth=1
	v_cvt_f32_u32_e32 v3, s28
	v_cvt_f32_u32_e32 v4, s29
	s_sub_u32 s0, 0, s28
	s_subb_u32 s1, 0, s29
	v_mac_f32_e32 v3, 0x4f800000, v4
	v_rcp_f32_e32 v3, v3
	v_mul_f32_e32 v3, 0x5f7ffffc, v3
	v_mul_f32_e32 v4, 0x2f800000, v3
	v_trunc_f32_e32 v4, v4
	v_mac_f32_e32 v3, 0xcf800000, v4
	v_cvt_u32_f32_e32 v4, v4
	v_cvt_u32_f32_e32 v3, v3
	v_mul_lo_u32 v8, s0, v4
	v_mul_hi_u32 v11, s0, v3
	v_mul_lo_u32 v13, s1, v3
	v_mul_lo_u32 v12, s0, v3
	v_add_u32_e32 v8, v11, v8
	v_add_u32_e32 v8, v8, v13
	v_mul_hi_u32 v11, v3, v12
	v_mul_lo_u32 v13, v3, v8
	v_mul_hi_u32 v15, v3, v8
	v_mul_hi_u32 v14, v4, v12
	v_mul_lo_u32 v12, v4, v12
	v_mul_hi_u32 v16, v4, v8
	v_add_co_u32_e32 v11, vcc, v11, v13
	v_addc_co_u32_e32 v13, vcc, 0, v15, vcc
	v_mul_lo_u32 v8, v4, v8
	v_add_co_u32_e32 v11, vcc, v11, v12
	v_addc_co_u32_e32 v11, vcc, v13, v14, vcc
	v_addc_co_u32_e32 v12, vcc, 0, v16, vcc
	v_add_co_u32_e32 v8, vcc, v11, v8
	v_addc_co_u32_e32 v11, vcc, 0, v12, vcc
	v_add_co_u32_e32 v3, vcc, v3, v8
	v_addc_co_u32_e32 v4, vcc, v4, v11, vcc
	v_mul_lo_u32 v8, s0, v4
	v_mul_hi_u32 v11, s0, v3
	v_mul_lo_u32 v12, s1, v3
	v_mul_lo_u32 v13, s0, v3
	v_add_u32_e32 v8, v11, v8
	v_add_u32_e32 v8, v8, v12
	v_mul_lo_u32 v14, v3, v8
	v_mul_hi_u32 v15, v3, v13
	v_mul_hi_u32 v16, v3, v8
	;; [unrolled: 1-line block ×3, first 2 shown]
	v_mul_lo_u32 v13, v4, v13
	v_mul_hi_u32 v11, v4, v8
	v_add_co_u32_e32 v14, vcc, v15, v14
	v_addc_co_u32_e32 v15, vcc, 0, v16, vcc
	v_mul_lo_u32 v8, v4, v8
	v_add_co_u32_e32 v13, vcc, v14, v13
	v_addc_co_u32_e32 v12, vcc, v15, v12, vcc
	v_addc_co_u32_e32 v11, vcc, 0, v11, vcc
	v_add_co_u32_e32 v8, vcc, v12, v8
	v_addc_co_u32_e32 v11, vcc, 0, v11, vcc
	v_add_co_u32_e32 v8, vcc, v3, v8
	v_addc_co_u32_e32 v11, vcc, v4, v11, vcc
	v_mad_u64_u32 v[3:4], s[0:1], v9, v11, 0
	v_mul_hi_u32 v12, v9, v8
	v_add_co_u32_e32 v13, vcc, v12, v3
	v_addc_co_u32_e32 v14, vcc, 0, v4, vcc
	v_mad_u64_u32 v[3:4], s[0:1], v10, v8, 0
	v_mad_u64_u32 v[11:12], s[0:1], v10, v11, 0
	v_add_co_u32_e32 v3, vcc, v13, v3
	v_addc_co_u32_e32 v3, vcc, v14, v4, vcc
	v_addc_co_u32_e32 v4, vcc, 0, v12, vcc
	v_add_co_u32_e32 v8, vcc, v3, v11
	v_addc_co_u32_e32 v11, vcc, 0, v4, vcc
	v_mul_lo_u32 v12, s29, v8
	v_mul_lo_u32 v13, s28, v11
	v_mad_u64_u32 v[3:4], s[0:1], s28, v8, 0
	v_add3_u32 v4, v4, v13, v12
	v_sub_u32_e32 v12, v10, v4
	v_mov_b32_e32 v13, s29
	v_sub_co_u32_e32 v3, vcc, v9, v3
	v_subb_co_u32_e64 v12, s[0:1], v12, v13, vcc
	v_subrev_co_u32_e64 v13, s[0:1], s28, v3
	v_subbrev_co_u32_e64 v12, s[0:1], 0, v12, s[0:1]
	v_cmp_le_u32_e64 s[0:1], s29, v12
	v_cndmask_b32_e64 v14, 0, -1, s[0:1]
	v_cmp_le_u32_e64 s[0:1], s28, v13
	v_cndmask_b32_e64 v13, 0, -1, s[0:1]
	v_cmp_eq_u32_e64 s[0:1], s29, v12
	v_cndmask_b32_e64 v12, v14, v13, s[0:1]
	v_add_co_u32_e64 v13, s[0:1], 2, v8
	v_addc_co_u32_e64 v14, s[0:1], 0, v11, s[0:1]
	v_add_co_u32_e64 v15, s[0:1], 1, v8
	v_addc_co_u32_e64 v16, s[0:1], 0, v11, s[0:1]
	v_subb_co_u32_e32 v4, vcc, v10, v4, vcc
	v_cmp_ne_u32_e64 s[0:1], 0, v12
	v_cmp_le_u32_e32 vcc, s29, v4
	v_cndmask_b32_e64 v12, v16, v14, s[0:1]
	v_cndmask_b32_e64 v14, 0, -1, vcc
	v_cmp_le_u32_e32 vcc, s28, v3
	v_cndmask_b32_e64 v3, 0, -1, vcc
	v_cmp_eq_u32_e32 vcc, s29, v4
	v_cndmask_b32_e32 v3, v14, v3, vcc
	v_cmp_ne_u32_e32 vcc, 0, v3
	v_cndmask_b32_e64 v3, v15, v13, s[0:1]
	v_cndmask_b32_e32 v4, v11, v12, vcc
	v_cndmask_b32_e32 v3, v8, v3, vcc
.LBB0_4:                                ;   in Loop: Header=BB0_2 Depth=1
	s_andn2_saveexec_b64 s[0:1], s[30:31]
	s_cbranch_execz .LBB0_6
; %bb.5:                                ;   in Loop: Header=BB0_2 Depth=1
	v_cvt_f32_u32_e32 v3, s28
	s_sub_i32 s30, 0, s28
	v_rcp_iflag_f32_e32 v3, v3
	v_mul_f32_e32 v3, 0x4f7ffffe, v3
	v_cvt_u32_f32_e32 v3, v3
	v_mul_lo_u32 v4, s30, v3
	v_mul_hi_u32 v4, v3, v4
	v_add_u32_e32 v3, v3, v4
	v_mul_hi_u32 v3, v9, v3
	v_mul_lo_u32 v4, v3, s28
	v_add_u32_e32 v8, 1, v3
	v_sub_u32_e32 v4, v9, v4
	v_subrev_u32_e32 v11, s28, v4
	v_cmp_le_u32_e32 vcc, s28, v4
	v_cndmask_b32_e32 v4, v4, v11, vcc
	v_cndmask_b32_e32 v3, v3, v8, vcc
	v_add_u32_e32 v8, 1, v3
	v_cmp_le_u32_e32 vcc, s28, v4
	v_cndmask_b32_e32 v3, v3, v8, vcc
	v_mov_b32_e32 v4, v7
.LBB0_6:                                ;   in Loop: Header=BB0_2 Depth=1
	s_or_b64 exec, exec, s[0:1]
	v_mul_lo_u32 v8, v4, s28
	v_mul_lo_u32 v13, v3, s29
	v_mad_u64_u32 v[11:12], s[0:1], v3, s28, 0
	s_load_dwordx2 s[0:1], s[22:23], 0x0
	s_load_dwordx2 s[28:29], s[6:7], 0x0
	v_add3_u32 v8, v12, v13, v8
	v_sub_co_u32_e32 v9, vcc, v9, v11
	v_subb_co_u32_e32 v8, vcc, v10, v8, vcc
	s_waitcnt lgkmcnt(0)
	v_mul_lo_u32 v10, s0, v8
	v_mul_lo_u32 v11, s1, v9
	v_mad_u64_u32 v[5:6], s[0:1], s0, v9, v[5:6]
	v_mul_lo_u32 v8, s28, v8
	v_mul_lo_u32 v12, s29, v9
	v_mad_u64_u32 v[1:2], s[0:1], s28, v9, v[1:2]
	s_add_u32 s26, s26, 1
	s_addc_u32 s27, s27, 0
	s_add_u32 s6, s6, 8
	v_add3_u32 v2, v12, v2, v8
	s_addc_u32 s7, s7, 0
	v_mov_b32_e32 v8, s10
	s_add_u32 s22, s22, 8
	v_mov_b32_e32 v9, s11
	s_addc_u32 s23, s23, 0
	v_cmp_ge_u64_e32 vcc, s[26:27], v[8:9]
	s_add_u32 s24, s24, 8
	v_add3_u32 v6, v11, v6, v10
	s_addc_u32 s25, s25, 0
	s_cbranch_vccnz .LBB0_9
; %bb.7:                                ;   in Loop: Header=BB0_2 Depth=1
	v_mov_b32_e32 v10, v4
	v_mov_b32_e32 v9, v3
	s_branch .LBB0_2
.LBB0_8:
	v_mov_b32_e32 v1, v5
	v_mov_b32_e32 v3, v9
	;; [unrolled: 1-line block ×4, first 2 shown]
.LBB0_9:
	s_load_dwordx2 s[0:1], s[4:5], 0x28
	s_lshl_b64 s[10:11], s[10:11], 3
	s_add_u32 s4, s18, s10
	s_addc_u32 s5, s19, s11
                                        ; implicit-def: $sgpr18_sgpr19
                                        ; implicit-def: $vgpr69
                                        ; implicit-def: $vgpr71
                                        ; implicit-def: $vgpr72
                                        ; implicit-def: $vgpr70
                                        ; implicit-def: $vgpr56
                                        ; implicit-def: $vgpr57
                                        ; implicit-def: $vgpr55
                                        ; implicit-def: $vgpr54
                                        ; implicit-def: $vgpr61
                                        ; implicit-def: $vgpr59
                                        ; implicit-def: $vgpr58
                                        ; implicit-def: $vgpr60
	s_waitcnt lgkmcnt(0)
	v_cmp_gt_u64_e32 vcc, s[0:1], v[3:4]
	v_cmp_le_u64_e64 s[0:1], s[0:1], v[3:4]
	s_and_saveexec_b64 s[6:7], s[0:1]
	s_xor_b64 s[0:1], exec, s[6:7]
	s_cbranch_execz .LBB0_11
; %bb.10:
	s_mov_b32 s6, 0x4104105
	v_mul_hi_u32 v5, v0, s6
	s_mov_b64 s[18:19], 0
	v_mul_u32_u24_e32 v5, 63, v5
	v_sub_u32_e32 v69, v0, v5
	v_add_u32_e32 v71, 63, v69
	v_add_u32_e32 v72, 0x7e, v69
	;; [unrolled: 1-line block ×11, first 2 shown]
                                        ; implicit-def: $vgpr0
                                        ; implicit-def: $vgpr5_vgpr6
.LBB0_11:
	s_or_saveexec_b64 s[6:7], s[0:1]
	v_mov_b32_e32 v51, s19
	v_mov_b32_e32 v37, s19
	;; [unrolled: 1-line block ×24, first 2 shown]
                                        ; implicit-def: $vgpr53
                                        ; implicit-def: $vgpr7
                                        ; implicit-def: $vgpr9
                                        ; implicit-def: $vgpr11
                                        ; implicit-def: $vgpr13
                                        ; implicit-def: $vgpr15
                                        ; implicit-def: $vgpr19
                                        ; implicit-def: $vgpr17
                                        ; implicit-def: $vgpr21
                                        ; implicit-def: $vgpr23
                                        ; implicit-def: $vgpr27
                                        ; implicit-def: $vgpr41
	s_xor_b64 exec, exec, s[6:7]
	s_cbranch_execz .LBB0_13
; %bb.12:
	s_add_u32 s0, s16, s10
	s_mov_b32 s10, 0x4104105
	v_mul_hi_u32 v7, v0, s10
	s_addc_u32 s1, s17, s11
	s_load_dwordx2 s[0:1], s[0:1], 0x0
	v_lshlrev_b64 v[5:6], 3, v[5:6]
	v_mul_u32_u24_e32 v7, 63, v7
	v_sub_u32_e32 v69, v0, v7
	v_mad_u64_u32 v[7:8], s[10:11], s20, v69, 0
	s_waitcnt lgkmcnt(0)
	v_mul_lo_u32 v13, s1, v3
	v_mul_lo_u32 v14, s0, v4
	v_mad_u64_u32 v[9:10], s[0:1], s0, v3, 0
	v_mov_b32_e32 v0, v8
	v_mad_u64_u32 v[11:12], s[0:1], s21, v69, v[0:1]
	v_add3_u32 v10, v10, v14, v13
	v_lshlrev_b64 v[9:10], 3, v[9:10]
	v_mov_b32_e32 v8, v11
	v_mov_b32_e32 v0, s13
	v_add_co_u32_e64 v11, s[0:1], s12, v9
	v_add_u32_e32 v12, 0x2f4, v69
	v_addc_co_u32_e64 v0, s[0:1], v0, v10, s[0:1]
	v_mad_u64_u32 v[9:10], s[0:1], s20, v12, 0
	v_add_co_u32_e64 v21, s[0:1], v11, v5
	v_addc_co_u32_e64 v22, s[0:1], v0, v6, s[0:1]
	v_mov_b32_e32 v0, v10
	v_add_u32_e32 v71, 63, v69
	v_lshlrev_b64 v[5:6], 3, v[7:8]
	v_mad_u64_u32 v[7:8], s[0:1], s21, v12, v[0:1]
	v_mad_u64_u32 v[11:12], s[0:1], s20, v71, 0
	v_add_co_u32_e64 v13, s[0:1], v21, v5
	v_mov_b32_e32 v10, v7
	v_mov_b32_e32 v0, v12
	v_addc_co_u32_e64 v14, s[0:1], v22, v6, s[0:1]
	v_lshlrev_b64 v[5:6], 3, v[9:10]
	v_mad_u64_u32 v[7:8], s[0:1], s21, v71, v[0:1]
	v_add_u32_e32 v10, 0x333, v69
	v_mad_u64_u32 v[8:9], s[0:1], s20, v10, 0
	v_add_co_u32_e64 v15, s[0:1], v21, v5
	v_mov_b32_e32 v0, v9
	v_addc_co_u32_e64 v16, s[0:1], v22, v6, s[0:1]
	v_mov_b32_e32 v12, v7
	v_mad_u64_u32 v[9:10], s[0:1], s21, v10, v[0:1]
	v_add_u32_e32 v72, 0x7e, v69
	v_lshlrev_b64 v[5:6], 3, v[11:12]
	v_mad_u64_u32 v[10:11], s[0:1], s20, v72, 0
	v_add_co_u32_e64 v17, s[0:1], v21, v5
	v_mov_b32_e32 v0, v11
	v_addc_co_u32_e64 v18, s[0:1], v22, v6, s[0:1]
	v_lshlrev_b64 v[5:6], 3, v[8:9]
	v_mad_u64_u32 v[7:8], s[0:1], s21, v72, v[0:1]
	v_add_u32_e32 v12, 0x372, v69
	v_mad_u64_u32 v[8:9], s[0:1], s20, v12, 0
	v_add_co_u32_e64 v19, s[0:1], v21, v5
	v_mov_b32_e32 v11, v7
	v_mov_b32_e32 v0, v9
	v_addc_co_u32_e64 v20, s[0:1], v22, v6, s[0:1]
	v_lshlrev_b64 v[5:6], 3, v[10:11]
	v_mad_u64_u32 v[9:10], s[0:1], s21, v12, v[0:1]
	v_add_u32_e32 v70, 0xbd, v69
	v_mad_u64_u32 v[10:11], s[0:1], s20, v70, 0
	v_add_co_u32_e64 v42, s[0:1], v21, v5
	v_mov_b32_e32 v0, v11
	v_addc_co_u32_e64 v43, s[0:1], v22, v6, s[0:1]
	v_lshlrev_b64 v[5:6], 3, v[8:9]
	v_mad_u64_u32 v[7:8], s[0:1], s21, v70, v[0:1]
	v_add_u32_e32 v12, 0x3b1, v69
	v_mad_u64_u32 v[8:9], s[0:1], s20, v12, 0
	v_add_co_u32_e64 v44, s[0:1], v21, v5
	v_mov_b32_e32 v11, v7
	v_mov_b32_e32 v0, v9
	v_addc_co_u32_e64 v45, s[0:1], v22, v6, s[0:1]
	v_lshlrev_b64 v[5:6], 3, v[10:11]
	v_mad_u64_u32 v[9:10], s[0:1], s21, v12, v[0:1]
	v_add_u32_e32 v56, 0xfc, v69
	;; [unrolled: 15-line block ×9, first 2 shown]
	v_mad_u64_u32 v[10:11], s[0:1], s20, v60, 0
	v_add_co_u32_e64 v91, s[0:1], v21, v5
	v_mov_b32_e32 v0, v11
	v_addc_co_u32_e64 v92, s[0:1], v22, v6, s[0:1]
	v_lshlrev_b64 v[5:6], 3, v[8:9]
	v_mad_u64_u32 v[7:8], s[0:1], s21, v60, v[0:1]
	v_add_u32_e32 v12, 0x5a9, v69
	v_mad_u64_u32 v[8:9], s[0:1], s20, v12, 0
	v_add_co_u32_e64 v93, s[0:1], v21, v5
	v_mov_b32_e32 v11, v7
	v_mov_b32_e32 v0, v9
	v_addc_co_u32_e64 v94, s[0:1], v22, v6, s[0:1]
	v_lshlrev_b64 v[5:6], 3, v[10:11]
	v_mad_u64_u32 v[9:10], s[0:1], s21, v12, v[0:1]
	v_add_co_u32_e64 v95, s[0:1], v21, v5
	v_addc_co_u32_e64 v96, s[0:1], v22, v6, s[0:1]
	v_lshlrev_b64 v[5:6], 3, v[8:9]
	v_add_co_u32_e64 v97, s[0:1], v21, v5
	v_addc_co_u32_e64 v98, s[0:1], v22, v6, s[0:1]
	global_load_dwordx2 v[50:51], v[13:14], off
	global_load_dwordx2 v[52:53], v[15:16], off
	;; [unrolled: 1-line block ×15, first 2 shown]
                                        ; kill: killed $vgpr19 killed $vgpr20
                                        ; kill: killed $vgpr64 killed $vgpr65
                                        ; kill: killed $vgpr15 killed $vgpr16
                                        ; kill: killed $vgpr42 killed $vgpr43
                                        ; kill: killed $vgpr66 killed $vgpr67
                                        ; kill: killed $vgpr44 killed $vgpr45
                                        ; kill: killed $vgpr73 killed $vgpr74
                                        ; kill: killed $vgpr46 killed $vgpr47
                                        ; kill: killed $vgpr75 killed $vgpr76
                                        ; kill: killed $vgpr48 killed $vgpr49
                                        ; kill: killed $vgpr77 killed $vgpr78
                                        ; kill: killed $vgpr17 killed $vgpr18
                                        ; kill: killed $vgpr62 killed $vgpr63
                                        ; kill: killed $vgpr79 killed $vgpr80
                                        ; kill: killed $vgpr13 killed $vgpr14
	global_load_dwordx2 v[12:13], v[81:82], off
	global_load_dwordx2 v[42:43], v[83:84], off
	;; [unrolled: 1-line block ×9, first 2 shown]
.LBB0_13:
	s_or_b64 exec, exec, s[6:7]
	s_waitcnt vmcnt(22)
	v_sub_f32_e32 v63, v50, v52
	s_waitcnt vmcnt(4)
	v_sub_f32_e32 v84, v44, v16
	v_fma_f32 v62, v50, 2.0, -v63
	v_fma_f32 v83, v44, 2.0, -v84
	v_lshl_add_u32 v44, v69, 3, 0
	v_sub_f32_e32 v65, v36, v40
	v_sub_f32_e32 v67, v30, v26
	;; [unrolled: 1-line block ×3, first 2 shown]
	ds_write_b64 v44, v[62:63]
	s_waitcnt vmcnt(2)
	v_sub_f32_e32 v63, v46, v14
	v_sub_f32_e32 v52, v51, v53
	v_fma_f32 v64, v36, 2.0, -v65
	v_fma_f32 v66, v30, 2.0, -v67
	;; [unrolled: 1-line block ×3, first 2 shown]
	v_sub_f32_e32 v74, v28, v8
	v_fma_f32 v62, v46, 2.0, -v63
	v_lshl_add_u32 v46, v71, 3, 0
	v_lshl_add_u32 v53, v72, 3, 0
	;; [unrolled: 1-line block ×3, first 2 shown]
	ds_write_b64 v46, v[64:65]
	ds_write_b64 v53, v[66:67]
	;; [unrolled: 1-line block ×3, first 2 shown]
	v_lshl_add_u32 v5, v56, 3, 0
	v_lshlrev_b32_e32 v6, 2, v56
	v_sub_f32_e32 v82, v42, v20
	v_lshl_add_u32 v68, v57, 3, 0
	v_sub_u32_e32 v20, v5, v6
	v_lshlrev_b32_e32 v6, 2, v57
	v_sub_f32_e32 v78, v34, v22
	v_lshl_add_u32 v87, v55, 3, 0
	v_sub_u32_e32 v22, v68, v6
	v_lshlrev_b32_e32 v6, 2, v55
	v_lshl_add_u32 v88, v54, 3, 0
	v_sub_u32_e32 v26, v87, v6
	v_lshlrev_b32_e32 v6, 2, v54
	v_sub_f32_e32 v76, v32, v10
	v_sub_f32_e32 v80, v38, v12
	s_waitcnt vmcnt(0)
	v_sub_f32_e32 v65, v48, v18
	v_lshl_add_u32 v89, v61, 3, 0
	v_lshl_add_u32 v92, v60, 3, 0
	v_sub_u32_e32 v30, v88, v6
	v_lshlrev_b32_e32 v6, 2, v61
	v_lshlrev_b32_e32 v12, 2, v60
	v_fma_f32 v51, v51, 2.0, -v52
	v_fma_f32 v73, v28, 2.0, -v74
	;; [unrolled: 1-line block ×7, first 2 shown]
	v_lshl_add_u32 v90, v59, 3, 0
	v_lshl_add_u32 v91, v58, 3, 0
	;; [unrolled: 1-line block ×3, first 2 shown]
	v_sub_u32_e32 v34, v89, v6
	v_lshlrev_b32_e32 v6, 2, v59
	v_lshlrev_b32_e32 v10, 2, v58
	v_sub_u32_e32 v40, v92, v12
	v_lshlrev_b32_e32 v12, 2, v70
	s_load_dwordx2 s[4:5], s[4:5], 0x0
	ds_write_b64 v5, v[73:74]
	ds_write_b64 v68, v[75:76]
	;; [unrolled: 1-line block ×8, first 2 shown]
	s_waitcnt lgkmcnt(0)
	; wave barrier
	s_waitcnt lgkmcnt(0)
	v_add_u32_e32 v14, 0xa00, v0
	v_sub_u32_e32 v6, v90, v6
	v_sub_u32_e32 v10, v91, v10
	v_lshl_add_u32 v16, v71, 2, 0
	v_lshl_add_u32 v18, v72, 2, 0
	v_add_u32_e32 v32, 0xc00, v0
	v_sub_u32_e32 v28, v8, v12
	v_add_u32_e32 v36, 0xe00, v0
	v_add_u32_e32 v24, 0x1000, v0
	ds_read_b32 v93, v0
	ds_read_b32 v94, v16
	;; [unrolled: 1-line block ×8, first 2 shown]
	v_add_u32_e32 v42, 0x1200, v0
	v_add_u32_e32 v38, 0x1400, v0
	ds_read_b32 v101, v34
	ds_read_b32 v102, v6
	;; [unrolled: 1-line block ×4, first 2 shown]
	ds_read2_b32 v[62:63], v14 offset0:116 offset1:179
	ds_read2_b32 v[64:65], v32 offset0:114 offset1:177
	;; [unrolled: 1-line block ×6, first 2 shown]
	s_waitcnt lgkmcnt(0)
	; wave barrier
	s_waitcnt lgkmcnt(0)
	ds_write_b64 v44, v[51:52]
	v_sub_f32_e32 v51, v37, v41
	v_fma_f32 v50, v37, 2.0, -v51
	ds_write_b64 v46, v[50:51]
	v_sub_f32_e32 v51, v31, v27
	v_fma_f32 v50, v31, 2.0, -v51
	ds_write_b64 v53, v[50:51]
	v_sub_f32_e32 v51, v25, v7
	v_fma_f32 v50, v25, 2.0, -v51
	v_sub_f32_e32 v53, v29, v9
	v_sub_f32_e32 v80, v33, v11
	;; [unrolled: 1-line block ×8, first 2 shown]
	v_and_b32_e32 v7, 1, v69
	v_fma_f32 v52, v29, 2.0, -v53
	v_fma_f32 v79, v33, 2.0, -v80
	;; [unrolled: 1-line block ×8, first 2 shown]
	ds_write_b64 v8, v[50:51]
	ds_write_b64 v5, v[52:53]
	;; [unrolled: 1-line block ×9, first 2 shown]
	v_lshlrev_b32_e32 v5, 3, v7
	v_and_b32_e32 v9, 1, v71
	s_waitcnt lgkmcnt(0)
	; wave barrier
	s_waitcnt lgkmcnt(0)
	global_load_dwordx2 v[43:44], v5, s[8:9]
	v_lshlrev_b32_e32 v5, 3, v9
	global_load_dwordx2 v[45:46], v5, s[8:9]
	v_and_b32_e32 v11, 1, v70
	v_lshlrev_b32_e32 v5, 3, v11
	v_and_b32_e32 v13, 1, v57
	global_load_dwordx2 v[47:48], v5, s[8:9]
	v_lshlrev_b32_e32 v5, 3, v13
	global_load_dwordx2 v[49:50], v5, s[8:9]
	v_and_b32_e32 v15, 1, v54
	v_lshlrev_b32_e32 v5, 3, v15
	global_load_dwordx2 v[51:52], v5, s[8:9]
	v_and_b32_e32 v17, 1, v59
	;; [unrolled: 3-line block ×3, first 2 shown]
	v_lshlrev_b32_e32 v5, 3, v19
	global_load_dwordx2 v[81:82], v5, s[8:9]
	ds_read2_b32 v[83:84], v14 offset0:116 offset1:179
	ds_read2_b32 v[85:86], v32 offset0:114 offset1:177
	s_movk_i32 s0, 0x7c
	v_lshlrev_b32_e32 v87, 1, v71
	v_lshlrev_b32_e32 v88, 1, v72
	s_movk_i32 s1, 0x2fc
	v_lshlrev_b32_e32 v89, 1, v55
	v_lshlrev_b32_e32 v90, 1, v54
	;; [unrolled: 1-line block ×3, first 2 shown]
	v_and_b32_e32 v107, 7, v56
	v_and_b32_e32 v108, 7, v55
	;; [unrolled: 1-line block ×4, first 2 shown]
	s_mov_b32 s6, 0xe38f
	s_waitcnt vmcnt(6)
	v_mul_f32_e32 v41, v66, v44
	s_waitcnt lgkmcnt(0)
	v_mul_f32_e32 v27, v85, v44
	s_waitcnt vmcnt(5)
	v_mul_f32_e32 v23, v84, v46
	v_mul_f32_e32 v25, v63, v46
	v_fmac_f32_e32 v23, v63, v45
	v_fma_f32 v25, v84, v45, -v25
	ds_read2_b32 v[45:46], v36 offset0:112 offset1:175
	s_waitcnt vmcnt(4)
	v_mul_f32_e32 v31, v86, v48
	v_mul_f32_e32 v33, v65, v48
	s_waitcnt vmcnt(3)
	v_mul_f32_e32 v37, v67, v50
	v_fmac_f32_e32 v31, v65, v47
	v_fma_f32 v33, v86, v47, -v33
	s_waitcnt lgkmcnt(0)
	v_mul_f32_e32 v35, v46, v50
	v_fma_f32 v37, v46, v49, -v37
	ds_read2_b32 v[46:47], v24 offset0:110 offset1:173
	v_mul_f32_e32 v39, v45, v44
	v_fma_f32 v41, v45, v43, -v41
	s_waitcnt vmcnt(2)
	v_mul_f32_e32 v45, v74, v52
	v_fmac_f32_e32 v35, v67, v49
	s_waitcnt lgkmcnt(0)
	v_mul_f32_e32 v49, v47, v52
	v_fma_f32 v53, v47, v51, -v45
	ds_read2_b32 v[47:48], v42 offset0:108 offset1:171
	v_mul_f32_e32 v45, v73, v44
	v_fma_f32 v63, v46, v43, -v45
	s_waitcnt vmcnt(1)
	v_mul_f32_e32 v45, v76, v80
	v_fmac_f32_e32 v27, v64, v43
	v_mul_f32_e32 v29, v64, v44
	v_mul_f32_e32 v50, v46, v44
	s_waitcnt lgkmcnt(0)
	v_fma_f32 v64, v48, v79, -v45
	ds_read2_b32 v[45:46], v38 offset0:106 offset1:169
	v_mul_f32_e32 v52, v75, v44
	v_mul_f32_e32 v5, v83, v44
	;; [unrolled: 1-line block ×3, first 2 shown]
	v_fmac_f32_e32 v49, v74, v51
	v_mul_f32_e32 v51, v48, v80
	v_mul_f32_e32 v48, v47, v44
	v_fma_f32 v65, v47, v43, -v52
	s_waitcnt lgkmcnt(0)
	v_mul_f32_e32 v47, v45, v44
	v_mul_f32_e32 v44, v77, v44
	v_fmac_f32_e32 v5, v62, v43
	v_fmac_f32_e32 v39, v66, v43
	v_fma_f32 v66, v45, v43, -v44
	s_waitcnt vmcnt(0)
	v_mul_f32_e32 v44, v78, v82
	v_fma_f32 v67, v46, v81, -v44
	v_sub_f32_e32 v44, v93, v5
	v_lshlrev_b32_e32 v5, 1, v69
	v_and_or_b32 v52, v5, s0, v7
	s_movk_i32 s0, 0xfc
	v_fma_f32 v21, v83, v43, -v21
	v_fma_f32 v29, v85, v43, -v29
	v_fmac_f32_e32 v50, v73, v43
	v_fmac_f32_e32 v48, v75, v43
	;; [unrolled: 1-line block ×3, first 2 shown]
	v_mul_f32_e32 v43, v46, v82
	v_fma_f32 v45, v93, 2.0, -v44
	v_lshl_add_u32 v83, v52, 2, 0
	v_sub_f32_e32 v23, v94, v23
	v_and_or_b32 v9, v87, s0, v9
	v_fmac_f32_e32 v51, v76, v79
	v_fmac_f32_e32 v43, v78, v81
	ds_read_b32 v46, v0
	ds_read_b32 v68, v16
	;; [unrolled: 1-line block ×12, first 2 shown]
	s_waitcnt lgkmcnt(0)
	; wave barrier
	s_waitcnt lgkmcnt(0)
	ds_write2_b32 v83, v45, v44 offset1:2
	v_fma_f32 v44, v94, 2.0, -v23
	v_lshl_add_u32 v9, v9, 2, 0
	s_movk_i32 s0, 0x1fc
	ds_write2_b32 v9, v44, v23 offset1:2
	v_sub_f32_e32 v23, v95, v27
	v_and_or_b32 v44, v88, s0, v7
	v_fma_f32 v27, v95, 2.0, -v23
	v_lshl_add_u32 v84, v44, 2, 0
	ds_write2_b32 v84, v27, v23 offset1:2
	v_sub_f32_e32 v23, v96, v31
	v_lshlrev_b32_e32 v31, 1, v70
	v_and_or_b32 v11, v31, s0, v11
	v_fma_f32 v27, v96, 2.0, -v23
	v_lshl_add_u32 v11, v11, 2, 0
	ds_write2_b32 v11, v27, v23 offset1:2
	v_sub_f32_e32 v23, v97, v39
	s_movk_i32 s0, 0x3fc
	v_lshlrev_b32_e32 v39, 1, v56
	v_and_or_b32 v44, v39, s0, v7
	v_fma_f32 v27, v97, 2.0, -v23
	v_lshl_add_u32 v85, v44, 2, 0
	ds_write2_b32 v85, v27, v23 offset1:2
	v_sub_f32_e32 v23, v98, v35
	v_lshlrev_b32_e32 v35, 1, v57
	v_and_or_b32 v13, v35, s1, v13
	v_fma_f32 v27, v98, 2.0, -v23
	v_lshl_add_u32 v13, v13, 2, 0
	ds_write2_b32 v13, v27, v23 offset1:2
	v_sub_f32_e32 v23, v99, v50
	v_and_or_b32 v44, v89, s0, v7
	v_fma_f32 v27, v99, 2.0, -v23
	v_lshl_add_u32 v86, v44, 2, 0
	ds_write2_b32 v86, v27, v23 offset1:2
	v_sub_f32_e32 v23, v100, v49
	v_and_or_b32 v15, v90, s0, v15
	v_fma_f32 v27, v100, 2.0, -v23
	v_lshl_add_u32 v15, v15, 2, 0
	ds_write2_b32 v15, v27, v23 offset1:2
	v_lshlrev_b32_e32 v23, 1, v61
	s_movk_i32 s0, 0x7fc
	v_sub_f32_e32 v27, v101, v48
	v_and_or_b32 v45, v23, s0, v7
	v_fma_f32 v44, v101, 2.0, -v27
	v_lshl_add_u32 v91, v45, 2, 0
	s_movk_i32 s0, 0x4fc
	ds_write2_b32 v91, v44, v27 offset1:2
	v_sub_f32_e32 v27, v102, v51
	v_and_or_b32 v17, v92, s0, v17
	v_fma_f32 v44, v102, 2.0, -v27
	v_lshl_add_u32 v17, v17, 2, 0
	s_movk_i32 s0, 0x5fc
	v_lshlrev_b32_e32 v93, 1, v58
	ds_write2_b32 v17, v44, v27 offset1:2
	v_sub_f32_e32 v27, v103, v47
	v_and_or_b32 v7, v93, s0, v7
	v_fma_f32 v44, v103, 2.0, -v27
	v_lshl_add_u32 v7, v7, 2, 0
	v_lshlrev_b32_e32 v94, 1, v60
	ds_write2_b32 v7, v44, v27 offset1:2
	v_sub_f32_e32 v27, v104, v43
	v_and_or_b32 v19, v94, s0, v19
	v_fma_f32 v43, v104, 2.0, -v27
	v_lshl_add_u32 v19, v19, 2, 0
	v_sub_f32_e32 v21, v46, v21
	ds_write2_b32 v19, v43, v27 offset1:2
	v_fma_f32 v27, v46, 2.0, -v21
	s_waitcnt lgkmcnt(0)
	; wave barrier
	s_waitcnt lgkmcnt(0)
	ds_read_b32 v95, v0
	ds_read_b32 v96, v16
	;; [unrolled: 1-line block ×12, first 2 shown]
	ds_read2_b32 v[43:44], v14 offset0:116 offset1:179
	ds_read2_b32 v[45:46], v32 offset0:114 offset1:177
	;; [unrolled: 1-line block ×6, first 2 shown]
	s_waitcnt lgkmcnt(0)
	; wave barrier
	s_waitcnt lgkmcnt(0)
	ds_write2_b32 v83, v27, v21 offset1:2
	v_sub_f32_e32 v21, v68, v25
	v_fma_f32 v25, v68, 2.0, -v21
	ds_write2_b32 v9, v25, v21 offset1:2
	v_sub_f32_e32 v9, v73, v29
	v_fma_f32 v21, v73, 2.0, -v9
	;; [unrolled: 3-line block ×8, first 2 shown]
	v_sub_f32_e32 v13, v80, v64
	v_sub_f32_e32 v21, v81, v66
	;; [unrolled: 1-line block ×3, first 2 shown]
	v_fma_f32 v15, v80, 2.0, -v13
	v_fma_f32 v25, v81, 2.0, -v21
	;; [unrolled: 1-line block ×3, first 2 shown]
	ds_write2_b32 v91, v11, v9 offset1:2
	ds_write2_b32 v17, v15, v13 offset1:2
	;; [unrolled: 1-line block ×4, first 2 shown]
	v_and_b32_e32 v7, 3, v72
	v_lshlrev_b32_e32 v9, 3, v7
	s_waitcnt lgkmcnt(0)
	; wave barrier
	s_waitcnt lgkmcnt(0)
	global_load_dwordx2 v[63:64], v9, s[8:9] offset:16
	v_and_b32_e32 v9, 3, v70
	v_lshlrev_b32_e32 v11, 3, v9
	global_load_dwordx2 v[65:66], v11, s[8:9] offset:16
	v_and_b32_e32 v11, 3, v55
	v_lshlrev_b32_e32 v13, 3, v11
	;; [unrolled: 3-line block ×4, first 2 shown]
	global_load_dwordx2 v[75:76], v17, s[8:9] offset:16
	v_and_b32_e32 v17, 3, v59
	v_and_b32_e32 v21, 3, v69
	v_lshlrev_b32_e32 v19, 3, v17
	v_lshlrev_b32_e32 v25, 3, v21
	global_load_dwordx2 v[77:78], v25, s[8:9] offset:16
	global_load_dwordx2 v[79:80], v19, s[8:9] offset:16
	v_and_b32_e32 v19, 3, v57
	v_lshlrev_b32_e32 v25, 3, v19
	global_load_dwordx2 v[81:82], v25, s[8:9] offset:16
	v_and_b32_e32 v25, 3, v58
	v_lshlrev_b32_e32 v27, 3, v25
	;; [unrolled: 3-line block ×3, first 2 shown]
	global_load_dwordx2 v[83:84], v29, s[8:9] offset:16
	ds_read2_b32 v[85:86], v32 offset0:114 offset1:177
	s_movk_i32 s0, 0x78
	s_movk_i32 s1, 0x2f8
	s_waitcnt vmcnt(9) lgkmcnt(0)
	v_mul_f32_e32 v29, v85, v64
	v_mul_f32_e32 v33, v45, v64
	v_fmac_f32_e32 v29, v45, v63
	v_fma_f32 v33, v85, v63, -v33
	ds_read2_b32 v[63:64], v24 offset0:110 offset1:173
	s_waitcnt vmcnt(8)
	v_mul_f32_e32 v37, v86, v66
	v_mul_f32_e32 v41, v46, v66
	v_fmac_f32_e32 v37, v46, v65
	v_fma_f32 v53, v86, v65, -v41
	s_waitcnt vmcnt(7) lgkmcnt(0)
	v_mul_f32_e32 v60, v63, v68
	v_mul_f32_e32 v41, v49, v68
	ds_read2_b32 v[45:46], v14 offset0:116 offset1:179
	s_waitcnt vmcnt(6)
	v_mul_f32_e32 v65, v64, v74
	v_fmac_f32_e32 v60, v49, v67
	v_fma_f32 v63, v63, v67, -v41
	v_fmac_f32_e32 v65, v50, v73
	v_mul_f32_e32 v41, v50, v74
	ds_read2_b32 v[49:50], v36 offset0:112 offset1:175
	v_fma_f32 v64, v64, v73, -v41
	s_waitcnt vmcnt(5)
	v_mul_f32_e32 v41, v44, v76
	s_waitcnt lgkmcnt(1)
	v_mul_f32_e32 v66, v46, v76
	v_fma_f32 v46, v46, v75, -v41
	s_waitcnt vmcnt(4)
	v_mul_f32_e32 v41, v43, v78
	v_mul_f32_e32 v67, v45, v78
	v_fma_f32 v45, v45, v77, -v41
	s_waitcnt vmcnt(2) lgkmcnt(0)
	v_mul_f32_e32 v68, v50, v82
	v_mul_f32_e32 v41, v48, v82
	v_fmac_f32_e32 v68, v48, v81
	v_fma_f32 v48, v50, v81, -v41
	ds_read2_b32 v[41:42], v42 offset0:108 offset1:171
	v_fmac_f32_e32 v67, v43, v77
	v_mul_f32_e32 v50, v49, v78
	v_mul_f32_e32 v43, v47, v78
	v_fmac_f32_e32 v50, v47, v77
	v_fma_f32 v47, v49, v77, -v43
	s_waitcnt lgkmcnt(0)
	v_mul_f32_e32 v49, v41, v78
	v_mul_f32_e32 v43, v51, v78
	v_fmac_f32_e32 v66, v44, v75
	v_fmac_f32_e32 v49, v51, v77
	v_fma_f32 v51, v41, v77, -v43
	ds_read2_b32 v[43:44], v38 offset0:106 offset1:169
	v_mul_f32_e32 v41, v42, v80
	v_fmac_f32_e32 v41, v52, v79
	v_mul_f32_e32 v52, v52, v80
	v_fma_f32 v52, v42, v79, -v52
	s_waitcnt vmcnt(1) lgkmcnt(0)
	v_mul_f32_e32 v42, v43, v59
	v_mul_f32_e32 v59, v61, v59
	v_fmac_f32_e32 v42, v61, v58
	v_fma_f32 v43, v43, v58, -v59
	s_waitcnt vmcnt(0)
	v_mul_f32_e32 v59, v62, v84
	ds_read_b32 v73, v10
	ds_read_b32 v40, v40
	v_sub_f32_e32 v10, v95, v67
	v_and_or_b32 v61, v5, s0, v21
	v_mul_f32_e32 v58, v44, v84
	v_fma_f32 v44, v44, v83, -v59
	v_fma_f32 v59, v95, 2.0, -v10
	v_lshl_add_u32 v82, v61, 2, 0
	s_movk_i32 s0, 0xf8
	ds_read_b32 v67, v6
	ds_read_b32 v74, v34
	;; [unrolled: 1-line block ×10, first 2 shown]
	s_waitcnt lgkmcnt(0)
	; wave barrier
	s_waitcnt lgkmcnt(0)
	ds_write2_b32 v82, v59, v10 offset1:4
	v_and_or_b32 v10, v87, s0, v15
	v_sub_f32_e32 v15, v96, v66
	s_movk_i32 s0, 0x1f8
	v_fma_f32 v59, v96, 2.0, -v15
	v_lshl_add_u32 v66, v10, 2, 0
	v_and_or_b32 v7, v88, s0, v7
	v_sub_f32_e32 v10, v97, v29
	ds_write2_b32 v66, v59, v15 offset1:4
	v_fma_f32 v15, v97, 2.0, -v10
	v_lshl_add_u32 v29, v7, 2, 0
	v_and_or_b32 v7, v31, s0, v9
	v_sub_f32_e32 v9, v98, v37
	ds_write2_b32 v29, v15, v10 offset1:4
	v_fma_f32 v10, v98, 2.0, -v9
	v_lshl_add_u32 v31, v7, 2, 0
	s_movk_i32 s0, 0x3f8
	ds_write2_b32 v31, v10, v9 offset1:4
	v_sub_f32_e32 v7, v99, v50
	v_and_or_b32 v10, v39, s0, v21
	v_fma_f32 v9, v99, 2.0, -v7
	v_lshl_add_u32 v37, v10, 2, 0
	ds_write2_b32 v37, v9, v7 offset1:4
	v_and_or_b32 v7, v35, s1, v19
	v_sub_f32_e32 v9, v100, v68
	v_sub_f32_e32 v39, v6, v45
	v_fma_f32 v10, v100, 2.0, -v9
	v_lshl_add_u32 v35, v7, 2, 0
	v_fma_f32 v45, v6, 2.0, -v39
	v_sub_f32_e32 v6, v101, v60
	v_and_or_b32 v11, v89, s0, v11
	ds_write2_b32 v35, v10, v9 offset1:4
	v_fma_f32 v7, v101, 2.0, -v6
	v_sub_f32_e32 v9, v102, v65
	v_lshl_add_u32 v65, v11, 2, 0
	ds_write2_b32 v65, v7, v6 offset1:4
	v_and_or_b32 v6, v90, s0, v13
	s_movk_i32 s0, 0x7f8
	v_lshl_add_u32 v68, v6, 2, 0
	v_and_or_b32 v6, v23, s0, v21
	s_movk_i32 s0, 0x4f8
	v_lshl_add_u32 v23, v6, 2, 0
	v_and_or_b32 v6, v92, s0, v17
	s_movk_i32 s0, 0x5f8
	v_fmac_f32_e32 v58, v62, v83
	v_sub_f32_e32 v15, v103, v49
	v_lshl_add_u32 v83, v6, 2, 0
	v_and_or_b32 v6, v93, s0, v25
	v_fma_f32 v10, v102, 2.0, -v9
	v_fma_f32 v19, v103, 2.0, -v15
	v_sub_f32_e32 v41, v104, v41
	v_sub_f32_e32 v42, v105, v42
	;; [unrolled: 1-line block ×3, first 2 shown]
	v_lshl_add_u32 v25, v6, 2, 0
	v_and_or_b32 v6, v94, s0, v27
	v_fma_f32 v49, v104, 2.0, -v41
	v_fma_f32 v50, v105, 2.0, -v42
	;; [unrolled: 1-line block ×3, first 2 shown]
	ds_write2_b32 v68, v10, v9 offset1:4
	ds_write2_b32 v23, v19, v15 offset1:4
	v_lshl_add_u32 v27, v6, 2, 0
	v_add_u32_e32 v15, 0x800, v0
	ds_write2_b32 v83, v49, v41 offset1:4
	ds_write2_b32 v25, v50, v42 offset1:4
	;; [unrolled: 1-line block ×3, first 2 shown]
	s_waitcnt lgkmcnt(0)
	; wave barrier
	s_waitcnt lgkmcnt(0)
	ds_read_b32 v17, v0
	ds_read2_b32 v[93:94], v32 offset0:177 offset1:240
	ds_read2_b32 v[41:42], v15 offset0:55 offset1:118
	;; [unrolled: 1-line block ×4, first 2 shown]
	ds_read_b32 v11, v28
	ds_read_b32 v10, v20
	ds_read_b32 v9, v22
	ds_read_b32 v7, v26
	ds_read_b32 v105, v34
	ds_read_b32 v6, v30
	ds_read_b32 v13, v18
	ds_read_b32 v19, v16
	ds_read_b32 v21, v0 offset:5796
	ds_read2_b32 v[95:96], v24 offset0:173 offset1:236
	ds_read2_b32 v[97:98], v32 offset0:51 offset1:114
	;; [unrolled: 1-line block ×3, first 2 shown]
	s_waitcnt lgkmcnt(0)
	; wave barrier
	s_waitcnt lgkmcnt(0)
	ds_write2_b32 v82, v45, v39 offset1:4
	v_sub_f32_e32 v39, v75, v46
	v_fma_f32 v45, v75, 2.0, -v39
	v_sub_f32_e32 v33, v76, v33
	ds_write2_b32 v66, v45, v39 offset1:4
	v_fma_f32 v39, v76, 2.0, -v33
	ds_write2_b32 v29, v39, v33 offset1:4
	v_sub_f32_e32 v29, v77, v53
	v_fma_f32 v33, v77, 2.0, -v29
	v_sub_f32_e32 v39, v78, v47
	v_sub_f32_e32 v46, v79, v48
	;; [unrolled: 1-line block ×8, first 2 shown]
	v_fma_f32 v45, v78, 2.0, -v39
	v_fma_f32 v47, v79, 2.0, -v46
	;; [unrolled: 1-line block ×8, first 2 shown]
	ds_write2_b32 v31, v33, v29 offset1:4
	ds_write2_b32 v37, v45, v39 offset1:4
	;; [unrolled: 1-line block ×9, first 2 shown]
	v_and_b32_e32 v25, 7, v71
	v_lshlrev_b32_e32 v23, 4, v25
	s_waitcnt lgkmcnt(0)
	; wave barrier
	s_waitcnt lgkmcnt(0)
	global_load_dwordx4 v[43:46], v23, s[8:9] offset:48
	v_and_b32_e32 v27, 7, v72
	v_lshlrev_b32_e32 v23, 4, v27
	global_load_dwordx4 v[49:52], v23, s[8:9] offset:48
	v_and_b32_e32 v106, 7, v70
	v_lshlrev_b32_e32 v23, 4, v106
	global_load_dwordx4 v[64:67], v23, s[8:9] offset:48
	v_lshlrev_b32_e32 v23, 4, v107
	global_load_dwordx4 v[73:76], v23, s[8:9] offset:48
	v_and_b32_e32 v23, 7, v57
	v_lshlrev_b32_e32 v29, 4, v23
	global_load_dwordx4 v[77:80], v29, s[8:9] offset:48
	v_lshlrev_b32_e32 v29, 4, v108
	global_load_dwordx4 v[81:84], v29, s[8:9] offset:48
	;; [unrolled: 2-line block ×4, first 2 shown]
	ds_read2_b32 v[101:102], v15 offset0:55 offset1:118
	ds_read2_b32 v[103:104], v24 offset0:47 offset1:110
	ds_read_b32 v31, v34
	s_movk_i32 s0, 0xab
	s_mov_b32 s1, 0xaaab
	s_waitcnt vmcnt(7)
	v_mul_f32_e32 v29, v41, v44
	s_waitcnt lgkmcnt(2)
	v_mul_f32_e32 v40, v101, v44
	v_fma_f32 v48, v101, v43, -v29
	s_waitcnt lgkmcnt(1)
	v_mul_f32_e32 v44, v103, v46
	v_mul_f32_e32 v29, v59, v46
	v_fmac_f32_e32 v40, v41, v43
	v_fmac_f32_e32 v44, v59, v45
	v_fma_f32 v59, v103, v45, -v29
	s_waitcnt vmcnt(6)
	v_mul_f32_e32 v41, v102, v50
	v_mul_f32_e32 v29, v42, v50
	v_fmac_f32_e32 v41, v42, v49
	v_fma_f32 v49, v102, v49, -v29
	v_mul_f32_e32 v45, v104, v52
	ds_read2_b32 v[46:47], v15 offset0:181 offset1:244
	v_mul_f32_e32 v29, v60, v52
	ds_read2_b32 v[52:53], v24 offset0:173 offset1:236
	v_fma_f32 v63, v104, v51, -v29
	s_waitcnt vmcnt(5)
	v_mul_f32_e32 v29, v61, v65
	v_fmac_f32_e32 v45, v60, v51
	s_waitcnt lgkmcnt(1)
	v_mul_f32_e32 v42, v46, v65
	v_fma_f32 v51, v46, v64, -v29
	s_waitcnt lgkmcnt(0)
	v_mul_f32_e32 v50, v52, v67
	v_mul_f32_e32 v29, v95, v67
	v_fmac_f32_e32 v42, v61, v64
	v_fmac_f32_e32 v50, v95, v66
	v_fma_f32 v64, v52, v66, -v29
	ds_read2_b32 v[66:67], v32 offset0:51 offset1:114
	ds_read2_b32 v[101:102], v38 offset0:43 offset1:106
	s_waitcnt vmcnt(4)
	v_mul_f32_e32 v29, v62, v74
	v_fma_f32 v60, v47, v73, -v29
	v_mul_f32_e32 v29, v96, v76
	v_fma_f32 v65, v53, v75, -v29
	s_waitcnt vmcnt(3)
	v_mul_f32_e32 v29, v97, v78
	s_waitcnt lgkmcnt(1)
	v_fma_f32 v61, v66, v77, -v29
	v_mul_f32_e32 v29, v99, v80
	v_mul_f32_e32 v43, v47, v74
	;; [unrolled: 1-line block ×3, first 2 shown]
	s_waitcnt lgkmcnt(0)
	v_fma_f32 v66, v101, v79, -v29
	s_waitcnt vmcnt(2)
	v_mul_f32_e32 v29, v98, v82
	v_fmac_f32_e32 v43, v62, v73
	v_fma_f32 v62, v67, v81, -v29
	v_mul_f32_e32 v29, v100, v84
	v_mul_f32_e32 v47, v67, v82
	v_fma_f32 v67, v102, v83, -v29
	ds_read_b32 v29, v30
	ds_read2_b32 v[73:74], v32 offset0:177 offset1:240
	v_mul_f32_e32 v52, v53, v76
	s_waitcnt vmcnt(1)
	v_mul_f32_e32 v33, v105, v86
	v_fmac_f32_e32 v52, v96, v75
	v_mul_f32_e32 v75, v31, v86
	v_fma_f32 v76, v31, v85, -v33
	v_mul_f32_e32 v31, v94, v88
	v_fmac_f32_e32 v46, v97, v77
	v_mul_f32_e32 v53, v101, v80
	s_waitcnt lgkmcnt(0)
	v_mul_f32_e32 v77, v74, v88
	v_fma_f32 v74, v74, v87, -v31
	s_waitcnt vmcnt(0)
	v_mul_f32_e32 v31, v93, v90
	v_fmac_f32_e32 v53, v99, v79
	v_fmac_f32_e32 v47, v98, v81
	;; [unrolled: 1-line block ×4, first 2 shown]
	v_mul_f32_e32 v68, v73, v90
	v_fma_f32 v73, v73, v89, -v31
	ds_read_b32 v78, v0 offset:5796
	ds_read_b32 v37, v28
	ds_read_b32 v35, v20
	;; [unrolled: 1-line block ×7, first 2 shown]
	s_waitcnt lgkmcnt(7)
	v_mul_f32_e32 v81, v78, v92
	v_fmac_f32_e32 v81, v21, v91
	v_mul_f32_e32 v21, v21, v92
	v_add_f32_e32 v82, v75, v77
	v_mul_f32_e32 v58, v102, v84
	v_fma_f32 v78, v78, v91, -v21
	v_add_f32_e32 v21, v17, v75
	v_fmac_f32_e32 v17, -0.5, v82
	v_fmac_f32_e32 v58, v100, v83
	v_lshrrev_b32_e32 v82, 3, v69
	v_sub_f32_e32 v83, v76, v74
	v_mov_b32_e32 v84, v17
	v_mul_u32_u24_e32 v82, 24, v82
	v_fmac_f32_e32 v84, 0xbf5db3d7, v83
	v_fmac_f32_e32 v17, 0x3f5db3d7, v83
	v_lshrrev_b32_e32 v83, 3, v71
	v_or_b32_e32 v82, v82, v109
	v_mul_lo_u32 v83, v83, 24
	v_add_f32_e32 v21, v21, v77
	v_lshl_add_u32 v82, v82, 2, 0
	s_waitcnt lgkmcnt(0)
	; wave barrier
	s_waitcnt lgkmcnt(0)
	ds_write2_b32 v82, v21, v84 offset1:8
	v_add_f32_e32 v84, v40, v44
	v_add_f32_e32 v21, v19, v40
	v_fmac_f32_e32 v19, -0.5, v84
	ds_write_b32 v82, v17 offset:64
	v_or_b32_e32 v17, v83, v25
	v_sub_f32_e32 v25, v48, v59
	v_mov_b32_e32 v83, v19
	v_add_f32_e32 v21, v21, v44
	v_fmac_f32_e32 v83, 0xbf5db3d7, v25
	v_lshl_add_u32 v84, v17, 2, 0
	ds_write2_b32 v84, v21, v83 offset1:8
	v_lshrrev_b32_e32 v21, 3, v72
	v_mul_lo_u32 v21, v21, 24
	v_fmac_f32_e32 v19, 0x3f5db3d7, v25
	v_add_f32_e32 v25, v41, v45
	v_add_f32_e32 v17, v13, v41
	v_fmac_f32_e32 v13, -0.5, v25
	ds_write_b32 v84, v19 offset:64
	v_or_b32_e32 v19, v21, v27
	v_sub_f32_e32 v21, v49, v63
	v_mov_b32_e32 v25, v13
	v_add_f32_e32 v17, v17, v45
	v_fmac_f32_e32 v25, 0xbf5db3d7, v21
	v_lshl_add_u32 v83, v19, 2, 0
	ds_write2_b32 v83, v17, v25 offset1:8
	v_lshrrev_b32_e32 v25, 3, v70
	v_mul_lo_u32 v25, v25, 24
	v_add_f32_e32 v17, v80, v76
	v_add_f32_e32 v85, v17, v74
	;; [unrolled: 1-line block ×4, first 2 shown]
	v_fmac_f32_e32 v80, -0.5, v17
	v_fmac_f32_e32 v13, 0x3f5db3d7, v21
	v_add_f32_e32 v17, v11, v42
	v_fmac_f32_e32 v11, -0.5, v19
	v_sub_f32_e32 v19, v51, v64
	v_mov_b32_e32 v21, v11
	ds_write_b32 v83, v13 offset:64
	v_or_b32_e32 v13, v25, v106
	v_sub_f32_e32 v74, v75, v77
	v_fmac_f32_e32 v21, 0xbf5db3d7, v19
	v_add_f32_e32 v17, v17, v50
	v_lshl_add_u32 v75, v13, 2, 0
	ds_write2_b32 v75, v17, v21 offset1:8
	v_add_f32_e32 v17, v43, v52
	v_add_f32_e32 v13, v10, v43
	v_fmac_f32_e32 v10, -0.5, v17
	v_lshrrev_b32_e32 v21, 3, v56
	v_fmac_f32_e32 v11, 0x3f5db3d7, v19
	v_sub_f32_e32 v17, v60, v65
	v_mov_b32_e32 v19, v10
	v_mul_lo_u32 v21, v21, 24
	v_add_f32_e32 v25, v46, v53
	v_fmac_f32_e32 v19, 0xbf5db3d7, v17
	v_fmac_f32_e32 v10, 0x3f5db3d7, v17
	v_add_f32_e32 v17, v9, v46
	v_fmac_f32_e32 v9, -0.5, v25
	v_lshrrev_b32_e32 v25, 3, v57
	v_mov_b32_e32 v86, v80
	v_mul_lo_u32 v25, v25, 24
	v_fmac_f32_e32 v86, 0x3f5db3d7, v74
	v_fmac_f32_e32 v80, 0xbf5db3d7, v74
	v_add_f32_e32 v74, v79, v48
	v_add_f32_e32 v48, v48, v59
	v_fmac_f32_e32 v79, -0.5, v48
	ds_write_b32 v75, v11 offset:64
	v_or_b32_e32 v11, v21, v107
	v_sub_f32_e32 v40, v40, v44
	v_mov_b32_e32 v44, v79
	v_add_f32_e32 v48, v49, v63
	v_lshl_add_u32 v76, v11, 2, 0
	v_fmac_f32_e32 v44, 0x3f5db3d7, v40
	v_fmac_f32_e32 v79, 0xbf5db3d7, v40
	v_add_f32_e32 v40, v39, v49
	v_fmac_f32_e32 v39, -0.5, v48
	v_add_f32_e32 v13, v13, v52
	v_sub_f32_e32 v11, v61, v66
	ds_write_b32 v76, v10 offset:64
	v_or_b32_e32 v10, v25, v23
	v_sub_f32_e32 v41, v41, v45
	v_mov_b32_e32 v45, v39
	v_add_f32_e32 v48, v51, v64
	ds_write2_b32 v76, v13, v19 offset1:8
	v_mov_b32_e32 v13, v9
	v_fmac_f32_e32 v9, 0x3f5db3d7, v11
	v_lshl_add_u32 v77, v10, 2, 0
	v_fmac_f32_e32 v45, 0x3f5db3d7, v41
	v_fmac_f32_e32 v39, 0xbf5db3d7, v41
	v_add_f32_e32 v41, v37, v51
	v_fmac_f32_e32 v37, -0.5, v48
	ds_write_b32 v77, v9 offset:64
	v_lshrrev_b32_e32 v9, 3, v55
	v_sub_f32_e32 v42, v42, v50
	v_mov_b32_e32 v48, v37
	v_add_f32_e32 v49, v60, v65
	v_fmac_f32_e32 v13, 0xbf5db3d7, v11
	v_add_f32_e32 v17, v17, v53
	v_mul_lo_u32 v9, v9, 24
	v_fmac_f32_e32 v48, 0x3f5db3d7, v42
	v_fmac_f32_e32 v37, 0xbf5db3d7, v42
	v_add_f32_e32 v42, v35, v60
	v_fmac_f32_e32 v35, -0.5, v49
	ds_write2_b32 v77, v17, v13 offset1:8
	v_lshrrev_b32_e32 v17, 3, v54
	v_sub_f32_e32 v43, v43, v52
	v_mov_b32_e32 v49, v35
	v_add_f32_e32 v50, v61, v66
	v_add_f32_e32 v19, v47, v58
	v_mul_lo_u32 v17, v17, 24
	v_fmac_f32_e32 v49, 0x3f5db3d7, v43
	v_fmac_f32_e32 v35, 0xbf5db3d7, v43
	v_add_f32_e32 v43, v33, v61
	v_fmac_f32_e32 v33, -0.5, v50
	v_fmac_f32_e32 v68, v93, v89
	v_add_f32_e32 v11, v7, v47
	v_fmac_f32_e32 v7, -0.5, v19
	v_sub_f32_e32 v46, v46, v53
	v_mov_b32_e32 v50, v33
	v_add_f32_e32 v51, v62, v67
	v_sub_f32_e32 v19, v62, v67
	v_mov_b32_e32 v21, v7
	v_add_f32_e32 v13, v68, v81
	v_or_b32_e32 v9, v9, v108
	v_fmac_f32_e32 v50, 0x3f5db3d7, v46
	v_fmac_f32_e32 v33, 0xbf5db3d7, v46
	v_add_f32_e32 v46, v31, v62
	v_fmac_f32_e32 v31, -0.5, v51
	v_fmac_f32_e32 v21, 0xbf5db3d7, v19
	v_fmac_f32_e32 v7, 0x3f5db3d7, v19
	v_add_f32_e32 v10, v6, v68
	v_fmac_f32_e32 v6, -0.5, v13
	v_add_f32_e32 v11, v11, v58
	v_lshl_add_u32 v9, v9, 2, 0
	v_sub_f32_e32 v47, v47, v58
	v_mov_b32_e32 v51, v31
	v_add_f32_e32 v52, v73, v78
	v_sub_f32_e32 v13, v73, v78
	ds_write2_b32 v9, v11, v21 offset1:8
	v_mov_b32_e32 v11, v6
	ds_write_b32 v9, v7 offset:64
	v_or_b32_e32 v7, v17, v110
	v_fmac_f32_e32 v51, 0x3f5db3d7, v47
	v_fmac_f32_e32 v31, 0xbf5db3d7, v47
	v_add_f32_e32 v47, v29, v73
	v_fmac_f32_e32 v29, -0.5, v52
	v_sub_f32_e32 v52, v68, v81
	v_add_f32_e32 v10, v10, v81
	v_fmac_f32_e32 v11, 0xbf5db3d7, v13
	v_fmac_f32_e32 v6, 0x3f5db3d7, v13
	v_lshl_add_u32 v87, v7, 2, 0
	v_add_f32_e32 v74, v74, v59
	v_mov_b32_e32 v53, v29
	v_fmac_f32_e32 v29, 0xbf5db3d7, v52
	ds_write2_b32 v87, v10, v11 offset1:8
	ds_write_b32 v87, v6 offset:64
	s_waitcnt lgkmcnt(0)
	; wave barrier
	s_waitcnt lgkmcnt(0)
	ds_read_b32 v25, v0
	ds_read_b32 v21, v28
	;; [unrolled: 1-line block ×9, first 2 shown]
	ds_read_b32 v13, v0 offset:5796
	ds_read2_b32 v[6:7], v32 offset0:177 offset1:240
	ds_read2_b32 v[89:90], v15 offset0:55 offset1:118
	;; [unrolled: 1-line block ×7, first 2 shown]
	s_waitcnt lgkmcnt(0)
	; wave barrier
	s_waitcnt lgkmcnt(0)
	ds_write2_b32 v82, v85, v86 offset1:8
	ds_write_b32 v82, v80 offset:64
	v_add_f32_e32 v40, v40, v63
	v_add_f32_e32 v41, v41, v64
	;; [unrolled: 1-line block ×6, first 2 shown]
	v_fmac_f32_e32 v53, 0x3f5db3d7, v52
	ds_write2_b32 v84, v74, v44 offset1:8
	ds_write_b32 v84, v79 offset:64
	ds_write2_b32 v83, v40, v45 offset1:8
	ds_write_b32 v83, v39 offset:64
	;; [unrolled: 2-line block ×7, first 2 shown]
	v_mul_lo_u16_sdwa v29, v71, s0 dst_sel:DWORD dst_unused:UNUSED_PAD src0_sel:BYTE_0 src1_sel:DWORD
	v_lshrrev_b16_e32 v40, 12, v29
	v_mul_lo_u16_e32 v29, 24, v40
	v_mov_b32_e32 v9, 4
	v_sub_u16_e32 v41, v71, v29
	v_lshlrev_b32_sdwa v29, v9, v41 dst_sel:DWORD dst_unused:UNUSED_PAD src0_sel:DWORD src1_sel:BYTE_0
	s_waitcnt lgkmcnt(0)
	; wave barrier
	s_waitcnt lgkmcnt(0)
	global_load_dwordx4 v[44:47], v29, s[8:9] offset:176
	v_mul_lo_u16_sdwa v29, v72, s0 dst_sel:DWORD dst_unused:UNUSED_PAD src0_sel:BYTE_0 src1_sel:DWORD
	v_lshrrev_b16_e32 v42, 12, v29
	v_mul_lo_u16_e32 v29, 24, v42
	v_sub_u16_e32 v43, v72, v29
	v_lshlrev_b32_sdwa v29, v9, v43 dst_sel:DWORD dst_unused:UNUSED_PAD src0_sel:DWORD src1_sel:BYTE_0
	global_load_dwordx4 v[48:51], v29, s[8:9] offset:176
	v_mul_lo_u16_sdwa v29, v70, s0 dst_sel:DWORD dst_unused:UNUSED_PAD src0_sel:BYTE_0 src1_sel:DWORD
	v_lshrrev_b16_e32 v29, 12, v29
	v_mul_lo_u16_e32 v31, 24, v29
	v_sub_u16_e32 v33, v70, v31
	v_lshlrev_b32_sdwa v31, v9, v33 dst_sel:DWORD dst_unused:UNUSED_PAD src0_sel:DWORD src1_sel:BYTE_0
	global_load_dwordx4 v[58:61], v31, s[8:9] offset:176
	v_mul_u32_u24_sdwa v31, v56, s1 dst_sel:DWORD dst_unused:UNUSED_PAD src0_sel:WORD_0 src1_sel:DWORD
	v_lshrrev_b32_e32 v68, 20, v31
	v_mul_lo_u16_e32 v31, 24, v68
	v_sub_u16_e32 v104, v56, v31
	v_lshlrev_b32_e32 v31, 4, v104
	global_load_dwordx4 v[62:65], v31, s[8:9] offset:176
	v_mul_u32_u24_sdwa v31, v57, s1 dst_sel:DWORD dst_unused:UNUSED_PAD src0_sel:WORD_0 src1_sel:DWORD
	v_lshrrev_b32_e32 v105, 20, v31
	v_mul_lo_u16_e32 v31, 24, v105
	v_sub_u16_e32 v106, v57, v31
	v_lshlrev_b32_e32 v31, 4, v106
	;; [unrolled: 6-line block ×3, first 2 shown]
	global_load_dwordx4 v[77:80], v31, s[8:9] offset:176
	v_mul_lo_u16_sdwa v31, v69, s0 dst_sel:DWORD dst_unused:UNUSED_PAD src0_sel:BYTE_0 src1_sel:DWORD
	v_lshrrev_b16_e32 v109, 12, v31
	v_mul_lo_u16_e32 v31, 24, v109
	v_sub_u16_e32 v110, v69, v31
	v_lshlrev_b32_sdwa v31, v9, v110 dst_sel:DWORD dst_unused:UNUSED_PAD src0_sel:DWORD src1_sel:BYTE_0
	global_load_dwordx4 v[81:84], v31, s[8:9] offset:176
	v_mul_u32_u24_sdwa v31, v54, s1 dst_sel:DWORD dst_unused:UNUSED_PAD src0_sel:WORD_0 src1_sel:DWORD
	v_lshrrev_b32_e32 v111, 20, v31
	v_mul_lo_u16_e32 v31, 24, v111
	v_sub_u16_e32 v112, v54, v31
	v_lshlrev_b32_e32 v31, 4, v112
	global_load_dwordx4 v[85:88], v31, s[8:9] offset:176
	ds_read2_b32 v[52:53], v15 offset0:55 offset1:118
	ds_read2_b32 v[66:67], v24 offset0:47 offset1:110
	;; [unrolled: 1-line block ×3, first 2 shown]
	ds_read_b32 v35, v34
	v_cmp_gt_u32_e64 s[0:1], 9, v69
	s_waitcnt vmcnt(7) lgkmcnt(3)
	v_mul_f32_e32 v113, v52, v45
	v_mul_f32_e32 v31, v89, v45
	v_fmac_f32_e32 v113, v89, v44
	v_fma_f32 v89, v52, v44, -v31
	ds_read2_b32 v[44:45], v24 offset0:173 offset1:236
	s_waitcnt lgkmcnt(3)
	v_mul_f32_e32 v114, v66, v47
	v_mul_f32_e32 v31, v91, v47
	v_fmac_f32_e32 v114, v91, v46
	v_fma_f32 v91, v66, v46, -v31
	s_waitcnt vmcnt(6)
	v_mul_f32_e32 v115, v53, v49
	v_mul_f32_e32 v31, v90, v49
	v_fmac_f32_e32 v115, v90, v48
	v_fma_f32 v48, v53, v48, -v31
	v_mul_f32_e32 v49, v67, v51
	v_mul_f32_e32 v31, v92, v51
	v_fmac_f32_e32 v49, v92, v50
	v_fma_f32 v50, v67, v50, -v31
	s_waitcnt vmcnt(5) lgkmcnt(2)
	v_mul_f32_e32 v53, v101, v59
	v_mul_f32_e32 v31, v93, v59
	v_fmac_f32_e32 v53, v93, v58
	v_fma_f32 v58, v101, v58, -v31
	s_waitcnt lgkmcnt(0)
	v_mul_f32_e32 v59, v44, v61
	v_mul_f32_e32 v31, v95, v61
	v_fmac_f32_e32 v59, v95, v60
	v_fma_f32 v60, v44, v60, -v31
	s_waitcnt vmcnt(4)
	v_mul_f32_e32 v31, v94, v63
	v_fma_f32 v90, v102, v62, -v31
	v_mul_f32_e32 v92, v45, v65
	ds_read2_b32 v[46:47], v32 offset0:51 offset1:114
	v_mul_f32_e32 v31, v96, v65
	v_fmac_f32_e32 v92, v96, v64
	v_fma_f32 v64, v45, v64, -v31
	ds_read2_b32 v[44:45], v38 offset0:43 offset1:106
	s_waitcnt vmcnt(3)
	v_mul_f32_e32 v31, v97, v74
	s_waitcnt lgkmcnt(1)
	v_mul_f32_e32 v65, v46, v74
	v_fma_f32 v46, v46, v73, -v31
	v_mul_f32_e32 v31, v99, v76
	v_fmac_f32_e32 v65, v97, v73
	s_waitcnt lgkmcnt(0)
	v_mul_f32_e32 v73, v44, v76
	v_fma_f32 v74, v44, v75, -v31
	s_waitcnt vmcnt(2)
	v_mul_f32_e32 v31, v98, v78
	v_fmac_f32_e32 v73, v99, v75
	v_mul_f32_e32 v75, v47, v78
	v_fma_f32 v47, v47, v77, -v31
	v_mul_f32_e32 v31, v100, v80
	v_fmac_f32_e32 v75, v98, v77
	v_mul_f32_e32 v76, v45, v80
	v_fma_f32 v77, v45, v79, -v31
	ds_read_b32 v31, v30
	ds_read2_b32 v[44:45], v32 offset0:177 offset1:240
	v_mul_f32_e32 v61, v102, v63
	v_fmac_f32_e32 v61, v94, v62
	s_waitcnt vmcnt(1)
	v_mul_f32_e32 v51, v35, v82
	v_mul_f32_e32 v37, v103, v82
	s_waitcnt lgkmcnt(0)
	v_mul_f32_e32 v62, v45, v84
	v_fmac_f32_e32 v62, v7, v83
	v_mul_f32_e32 v7, v7, v84
	v_fma_f32 v7, v45, v83, -v7
	s_waitcnt vmcnt(0)
	v_mul_f32_e32 v45, v44, v86
	v_fmac_f32_e32 v45, v6, v85
	v_mul_f32_e32 v6, v6, v86
	v_fmac_f32_e32 v76, v100, v79
	v_fmac_f32_e32 v51, v103, v81
	v_fma_f32 v52, v35, v81, -v37
	v_fma_f32 v44, v44, v85, -v6
	ds_read_b32 v63, v0 offset:5796
	ds_read_b32 v39, v28
	ds_read_b32 v37, v20
	ds_read_b32 v35, v22
	ds_read_b32 v6, v26
	ds_read_b32 v78, v18
	ds_read_b32 v79, v16
	ds_read_b32 v80, v0
	s_waitcnt lgkmcnt(7)
	v_mul_f32_e32 v81, v63, v88
	v_fmac_f32_e32 v81, v13, v87
	v_mul_f32_e32 v13, v13, v88
	v_fma_f32 v82, v63, v87, -v13
	v_add_f32_e32 v13, v51, v62
	v_add_f32_e32 v63, v25, v51
	v_fmac_f32_e32 v25, -0.5, v13
	v_mov_b32_e32 v13, 2
	v_mul_u32_u24_e32 v66, 0x120, v109
	v_lshlrev_b32_sdwa v67, v13, v110 dst_sel:DWORD dst_unused:UNUSED_PAD src0_sel:DWORD src1_sel:BYTE_0
	v_add3_u32 v83, 0, v66, v67
	v_sub_f32_e32 v66, v52, v7
	v_mov_b32_e32 v67, v25
	v_add_f32_e32 v63, v63, v62
	v_fmac_f32_e32 v67, 0xbf5db3d7, v66
	v_fmac_f32_e32 v25, 0x3f5db3d7, v66
	v_add_f32_e32 v66, v113, v114
	s_waitcnt lgkmcnt(0)
	; wave barrier
	s_waitcnt lgkmcnt(0)
	ds_write2_b32 v83, v63, v67 offset1:24
	v_add_f32_e32 v63, v27, v113
	v_fmac_f32_e32 v27, -0.5, v66
	ds_write_b32 v83, v25 offset:192
	v_mul_u32_u24_e32 v25, 0x120, v40
	v_lshlrev_b32_sdwa v40, v13, v41 dst_sel:DWORD dst_unused:UNUSED_PAD src0_sel:DWORD src1_sel:BYTE_0
	v_add3_u32 v40, 0, v25, v40
	v_add_f32_e32 v25, v63, v114
	v_sub_f32_e32 v41, v89, v91
	v_mov_b32_e32 v63, v27
	v_fmac_f32_e32 v63, 0xbf5db3d7, v41
	v_fmac_f32_e32 v27, 0x3f5db3d7, v41
	v_add_f32_e32 v41, v115, v49
	ds_write2_b32 v40, v25, v63 offset1:24
	v_add_f32_e32 v25, v23, v115
	v_fmac_f32_e32 v23, -0.5, v41
	ds_write_b32 v40, v27 offset:192
	v_mul_u32_u24_e32 v27, 0x120, v42
	v_lshlrev_b32_sdwa v41, v13, v43 dst_sel:DWORD dst_unused:UNUSED_PAD src0_sel:DWORD src1_sel:BYTE_0
	v_add3_u32 v41, 0, v27, v41
	v_sub_f32_e32 v27, v48, v50
	v_mov_b32_e32 v42, v23
	v_add_f32_e32 v25, v25, v49
	v_fmac_f32_e32 v42, 0xbf5db3d7, v27
	v_fmac_f32_e32 v23, 0x3f5db3d7, v27
	v_add_f32_e32 v27, v53, v59
	ds_write2_b32 v41, v25, v42 offset1:24
	v_add_f32_e32 v25, v21, v53
	v_fmac_f32_e32 v21, -0.5, v27
	ds_write_b32 v41, v23 offset:192
	v_mul_u32_u24_e32 v23, 0x120, v29
	v_lshlrev_b32_sdwa v27, v13, v33 dst_sel:DWORD dst_unused:UNUSED_PAD src0_sel:DWORD src1_sel:BYTE_0
	v_add3_u32 v42, 0, v23, v27
	v_add_f32_e32 v23, v25, v59
	v_sub_f32_e32 v25, v58, v60
	v_mov_b32_e32 v27, v21
	v_fmac_f32_e32 v27, 0xbf5db3d7, v25
	v_fmac_f32_e32 v21, 0x3f5db3d7, v25
	v_add_f32_e32 v25, v61, v92
	ds_write2_b32 v42, v23, v27 offset1:24
	v_add_f32_e32 v23, v19, v61
	v_fmac_f32_e32 v19, -0.5, v25
	ds_write_b32 v42, v21 offset:192
	v_mul_u32_u24_e32 v21, 0x120, v68
	v_lshlrev_b32_e32 v25, 2, v104
	v_add3_u32 v43, 0, v21, v25
	v_add_f32_e32 v21, v23, v92
	v_sub_f32_e32 v23, v90, v64
	v_mov_b32_e32 v25, v19
	v_fmac_f32_e32 v25, 0xbf5db3d7, v23
	v_fmac_f32_e32 v19, 0x3f5db3d7, v23
	v_add_f32_e32 v23, v65, v73
	ds_write2_b32 v43, v21, v25 offset1:24
	v_add_f32_e32 v21, v17, v65
	v_fmac_f32_e32 v17, -0.5, v23
	ds_write_b32 v43, v19 offset:192
	v_mul_u32_u24_e32 v19, 0x120, v105
	v_lshlrev_b32_e32 v23, 2, v106
	v_add3_u32 v68, 0, v19, v23
	v_add_f32_e32 v19, v21, v73
	v_sub_f32_e32 v21, v46, v74
	v_mov_b32_e32 v23, v17
	v_fmac_f32_e32 v23, 0xbf5db3d7, v21
	ds_write2_b32 v68, v19, v23 offset1:24
	v_add_f32_e32 v19, v80, v52
	v_add_f32_e32 v84, v19, v7
	;; [unrolled: 1-line block ×4, first 2 shown]
	v_fmac_f32_e32 v80, -0.5, v7
	v_add_f32_e32 v7, v11, v75
	v_fmac_f32_e32 v11, -0.5, v19
	v_fmac_f32_e32 v17, 0x3f5db3d7, v21
	v_sub_f32_e32 v19, v47, v77
	v_mov_b32_e32 v21, v11
	v_fmac_f32_e32 v21, 0xbf5db3d7, v19
	v_fmac_f32_e32 v11, 0x3f5db3d7, v19
	ds_write_b32 v68, v17 offset:192
	v_mul_u32_u24_e32 v17, 0x120, v107
	v_lshlrev_b32_e32 v19, 2, v108
	v_add3_u32 v86, 0, v17, v19
	v_add_f32_e32 v7, v7, v76
	v_add_f32_e32 v17, v45, v81
	ds_write2_b32 v86, v7, v21 offset1:24
	v_add_f32_e32 v7, v10, v45
	v_fmac_f32_e32 v10, -0.5, v17
	v_sub_f32_e32 v17, v44, v82
	v_mov_b32_e32 v19, v10
	v_sub_f32_e32 v85, v51, v62
	v_fmac_f32_e32 v19, 0xbf5db3d7, v17
	v_fmac_f32_e32 v10, 0x3f5db3d7, v17
	ds_write_b32 v86, v11 offset:192
	v_mov_b32_e32 v87, v80
	v_mul_u32_u24_e32 v11, 0x120, v111
	v_lshlrev_b32_e32 v17, 2, v112
	v_fmac_f32_e32 v87, 0x3f5db3d7, v85
	v_add_f32_e32 v7, v7, v81
	v_add3_u32 v88, 0, v11, v17
	v_fmac_f32_e32 v80, 0xbf5db3d7, v85
	ds_write2_b32 v88, v7, v19 offset1:24
	ds_write_b32 v88, v10 offset:192
	s_waitcnt lgkmcnt(0)
	; wave barrier
	s_waitcnt lgkmcnt(0)
	ds_read_b32 v29, v0
	ds_read_b32 v23, v28
	;; [unrolled: 1-line block ×7, first 2 shown]
	ds_read_b32 v33, v0 offset:5796
	ds_read2_b32 v[10:11], v32 offset0:177 offset1:240
	ds_read2_b32 v[51:52], v15 offset0:55 offset1:118
	;; [unrolled: 1-line block ×7, first 2 shown]
	ds_read_b32 v101, v34
	ds_read_b32 v7, v30
	s_waitcnt lgkmcnt(0)
	; wave barrier
	s_waitcnt lgkmcnt(0)
	ds_write2_b32 v83, v84, v87 offset1:24
	ds_write_b32 v83, v80 offset:192
	v_add_f32_e32 v83, v89, v91
	v_add_f32_e32 v80, v79, v89
	v_fmac_f32_e32 v79, -0.5, v83
	v_sub_f32_e32 v83, v113, v114
	v_mov_b32_e32 v84, v79
	v_add_f32_e32 v80, v80, v91
	v_fmac_f32_e32 v84, 0x3f5db3d7, v83
	ds_write2_b32 v40, v80, v84 offset1:24
	v_add_f32_e32 v80, v78, v48
	v_add_f32_e32 v48, v48, v50
	v_fmac_f32_e32 v78, -0.5, v48
	v_add_f32_e32 v80, v80, v50
	v_sub_f32_e32 v48, v115, v49
	v_mov_b32_e32 v49, v78
	v_add_f32_e32 v50, v58, v60
	v_fmac_f32_e32 v49, 0x3f5db3d7, v48
	v_fmac_f32_e32 v78, 0xbf5db3d7, v48
	v_add_f32_e32 v48, v39, v58
	v_fmac_f32_e32 v39, -0.5, v50
	v_sub_f32_e32 v50, v53, v59
	v_mov_b32_e32 v53, v39
	v_add_f32_e32 v58, v90, v64
	v_fmac_f32_e32 v53, 0x3f5db3d7, v50
	v_fmac_f32_e32 v39, 0xbf5db3d7, v50
	v_add_f32_e32 v50, v37, v90
	v_fmac_f32_e32 v37, -0.5, v58
	v_sub_f32_e32 v58, v61, v92
	v_mov_b32_e32 v59, v37
	v_fmac_f32_e32 v59, 0x3f5db3d7, v58
	v_fmac_f32_e32 v37, 0xbf5db3d7, v58
	v_add_f32_e32 v58, v35, v46
	v_add_f32_e32 v46, v46, v74
	v_fmac_f32_e32 v35, -0.5, v46
	v_add_f32_e32 v48, v48, v60
	v_sub_f32_e32 v46, v65, v73
	v_mov_b32_e32 v60, v35
	v_fmac_f32_e32 v60, 0x3f5db3d7, v46
	v_fmac_f32_e32 v35, 0xbf5db3d7, v46
	v_add_f32_e32 v46, v6, v47
	v_add_f32_e32 v47, v47, v77
	v_fmac_f32_e32 v6, -0.5, v47
	v_sub_f32_e32 v47, v75, v76
	v_mov_b32_e32 v61, v6
	v_fmac_f32_e32 v61, 0x3f5db3d7, v47
	v_fmac_f32_e32 v6, 0xbf5db3d7, v47
	v_add_f32_e32 v47, v31, v44
	v_add_f32_e32 v44, v44, v82
	v_fmac_f32_e32 v31, -0.5, v44
	v_fmac_f32_e32 v79, 0xbf5db3d7, v83
	v_sub_f32_e32 v44, v45, v81
	v_mov_b32_e32 v45, v31
	v_add_f32_e32 v50, v50, v64
	v_add_f32_e32 v58, v58, v74
	v_add_f32_e32 v46, v46, v77
	v_add_f32_e32 v47, v47, v82
	v_fmac_f32_e32 v45, 0x3f5db3d7, v44
	v_fmac_f32_e32 v31, 0xbf5db3d7, v44
	ds_write_b32 v40, v79 offset:192
	ds_write2_b32 v41, v80, v49 offset1:24
	ds_write_b32 v41, v78 offset:192
	ds_write2_b32 v42, v48, v53 offset1:24
	;; [unrolled: 2-line block ×6, first 2 shown]
	ds_write_b32 v88, v31 offset:192
	v_mov_b32_e32 v6, 0
	v_lshlrev_b64 v[39:40], 3, v[5:6]
	v_add_u32_e32 v5, -9, v69
	v_cndmask_b32_e64 v102, v5, v71, s[0:1]
	v_lshlrev_b32_e32 v5, 1, v102
	v_lshlrev_b64 v[5:6], 3, v[5:6]
	v_mov_b32_e32 v31, s9
	v_add_co_u32_e64 v5, s[0:1], s8, v5
	v_addc_co_u32_e64 v6, s[0:1], v31, v6, s[0:1]
	s_waitcnt lgkmcnt(0)
	; wave barrier
	s_waitcnt lgkmcnt(0)
	global_load_dwordx4 v[42:45], v[5:6], off offset:560
	v_mov_b32_e32 v5, 57
	v_mul_lo_u16_sdwa v6, v72, v5 dst_sel:DWORD dst_unused:UNUSED_PAD src0_sel:BYTE_0 src1_sel:DWORD
	v_lshrrev_b16_e32 v103, 12, v6
	v_mul_lo_u16_e32 v6, 0x48, v103
	v_sub_u16_e32 v104, v72, v6
	v_mul_lo_u16_sdwa v5, v70, v5 dst_sel:DWORD dst_unused:UNUSED_PAD src0_sel:BYTE_0 src1_sel:DWORD
	v_add_co_u32_e64 v39, s[0:1], s8, v39
	v_lshlrev_b32_sdwa v6, v9, v104 dst_sel:DWORD dst_unused:UNUSED_PAD src0_sel:DWORD src1_sel:BYTE_0
	v_lshrrev_b16_e32 v5, 12, v5
	v_addc_co_u32_e64 v40, s[0:1], v31, v40, s[0:1]
	global_load_dwordx4 v[46:49], v6, s[8:9] offset:560
	global_load_dwordx4 v[85:88], v[39:40], off offset:560
	v_mul_lo_u16_e32 v6, 0x48, v5
	v_sub_u16_e32 v6, v70, v6
	v_lshlrev_b32_sdwa v9, v9, v6 dst_sel:DWORD dst_unused:UNUSED_PAD src0_sel:DWORD src1_sel:BYTE_0
	global_load_dwordx4 v[58:61], v9, s[8:9] offset:560
	v_mul_u32_u24_sdwa v9, v56, s6 dst_sel:DWORD dst_unused:UNUSED_PAD src0_sel:WORD_0 src1_sel:DWORD
	v_lshrrev_b32_e32 v105, 22, v9
	v_mul_lo_u16_e32 v9, 0x48, v105
	v_sub_u16_e32 v106, v56, v9
	v_lshlrev_b32_e32 v9, 4, v106
	global_load_dwordx4 v[73:76], v9, s[8:9] offset:560
	v_mul_u32_u24_sdwa v9, v57, s6 dst_sel:DWORD dst_unused:UNUSED_PAD src0_sel:WORD_0 src1_sel:DWORD
	v_lshrrev_b32_e32 v107, 22, v9
	v_mul_lo_u16_e32 v9, 0x48, v107
	v_sub_u16_e32 v108, v57, v9
	v_lshlrev_b32_e32 v9, 4, v108
	;; [unrolled: 6-line block ×4, first 2 shown]
	global_load_dwordx4 v[89:92], v9, s[8:9] offset:560
	ds_read2_b32 v[39:40], v15 offset0:55 offset1:118
	ds_read2_b32 v[55:56], v24 offset0:47 offset1:110
	v_cmp_lt_u32_e64 s[0:1], 8, v69
	v_lshlrev_b32_sdwa v6, v13, v6 dst_sel:DWORD dst_unused:UNUSED_PAD src0_sel:DWORD src1_sel:BYTE_0
	v_mul_u32_u24_e32 v5, 0x360, v5
	s_waitcnt vmcnt(7) lgkmcnt(1)
	v_mul_f32_e32 v41, v39, v43
	v_mul_f32_e32 v9, v51, v43
	v_fmac_f32_e32 v41, v51, v42
	v_fma_f32 v54, v39, v42, -v9
	s_waitcnt lgkmcnt(0)
	v_mul_f32_e32 v51, v55, v45
	v_mul_f32_e32 v9, v62, v45
	v_fmac_f32_e32 v51, v62, v44
	v_fma_f32 v64, v55, v44, -v9
	ds_read2_b32 v[43:44], v15 offset0:181 offset1:244
	ds_read2_b32 v[99:100], v24 offset0:173 offset1:236
	ds_read_b32 v34, v34
	s_waitcnt vmcnt(6)
	v_mul_f32_e32 v9, v52, v47
	v_fma_f32 v55, v40, v46, -v9
	v_mul_f32_e32 v9, v63, v49
	v_mul_f32_e32 v42, v40, v47
	v_fma_f32 v65, v56, v48, -v9
	s_waitcnt vmcnt(4)
	v_mul_f32_e32 v9, v66, v59
	v_fmac_f32_e32 v42, v52, v46
	v_mul_f32_e32 v52, v56, v49
	s_waitcnt lgkmcnt(2)
	v_fma_f32 v53, v43, v58, -v9
	v_mul_f32_e32 v9, v93, v61
	v_fmac_f32_e32 v52, v63, v48
	s_waitcnt lgkmcnt(1)
	v_fma_f32 v63, v99, v60, -v9
	s_waitcnt vmcnt(3)
	v_mul_f32_e32 v9, v67, v74
	v_mul_f32_e32 v39, v43, v59
	;; [unrolled: 1-line block ×3, first 2 shown]
	v_fma_f32 v49, v44, v73, -v9
	ds_read2_b32 v[43:44], v32 offset0:51 offset1:114
	ds_read2_b32 v[56:57], v38 offset0:43 offset1:106
	v_mul_f32_e32 v9, v94, v76
	v_fmac_f32_e32 v39, v66, v58
	v_fma_f32 v58, v100, v75, -v9
	s_waitcnt vmcnt(2)
	v_mul_f32_e32 v9, v95, v78
	s_waitcnt lgkmcnt(1)
	v_fma_f32 v50, v43, v77, -v9
	v_mul_f32_e32 v9, v97, v80
	s_waitcnt lgkmcnt(0)
	v_mul_f32_e32 v46, v56, v80
	v_fma_f32 v56, v56, v79, -v9
	s_waitcnt vmcnt(1)
	v_mul_f32_e32 v9, v96, v82
	v_fma_f32 v47, v44, v81, -v9
	v_mul_f32_e32 v9, v98, v84
	v_mul_f32_e32 v37, v43, v78
	;; [unrolled: 1-line block ×4, first 2 shown]
	v_fma_f32 v57, v57, v83, -v9
	ds_read_b32 v9, v30
	ds_read2_b32 v[43:44], v32 offset0:177 offset1:240
	v_fmac_f32_e32 v35, v67, v73
	v_mul_f32_e32 v73, v34, v86
	v_mul_f32_e32 v45, v100, v76
	v_fmac_f32_e32 v73, v101, v85
	s_waitcnt lgkmcnt(0)
	v_mul_f32_e32 v84, v44, v88
	v_fmac_f32_e32 v84, v11, v87
	v_mul_f32_e32 v11, v11, v88
	s_waitcnt vmcnt(0)
	v_mul_f32_e32 v68, v43, v90
	v_mul_f32_e32 v30, v101, v86
	v_fma_f32 v86, v44, v87, -v11
	v_fmac_f32_e32 v68, v10, v89
	v_mul_f32_e32 v10, v10, v90
	v_mul_f32_e32 v11, v33, v92
	v_fmac_f32_e32 v45, v94, v75
	v_fmac_f32_e32 v37, v95, v77
	;; [unrolled: 1-line block ×4, first 2 shown]
	v_fma_f32 v77, v43, v89, -v10
	ds_read_b32 v10, v0 offset:5796
	ds_read_b32 v76, v28
	ds_read_b32 v75, v20
	;; [unrolled: 1-line block ×7, first 2 shown]
	s_waitcnt lgkmcnt(7)
	v_fma_f32 v83, v10, v91, -v11
	v_add_f32_e32 v11, v73, v84
	v_fmac_f32_e32 v31, v96, v81
	v_fma_f32 v85, v34, v85, -v30
	v_mul_f32_e32 v81, v10, v92
	v_add_f32_e32 v10, v29, v73
	v_fmac_f32_e32 v29, -0.5, v11
	v_sub_f32_e32 v11, v85, v86
	v_mov_b32_e32 v20, v29
	v_fmac_f32_e32 v20, 0xbf5db3d7, v11
	v_fmac_f32_e32 v29, 0x3f5db3d7, v11
	v_add_f32_e32 v10, v10, v84
	v_add_f32_e32 v11, v41, v51
	s_waitcnt lgkmcnt(0)
	; wave barrier
	s_waitcnt lgkmcnt(0)
	ds_write2_b32 v0, v10, v20 offset1:72
	v_add_f32_e32 v10, v27, v41
	v_fmac_f32_e32 v27, -0.5, v11
	v_sub_f32_e32 v11, v54, v64
	v_mov_b32_e32 v20, v27
	v_add_f32_e32 v22, v42, v52
	v_fmac_f32_e32 v20, 0xbf5db3d7, v11
	v_fmac_f32_e32 v27, 0x3f5db3d7, v11
	v_add_f32_e32 v11, v25, v42
	v_fmac_f32_e32 v25, -0.5, v22
	v_mov_b32_e32 v22, 0x360
	v_mul_f32_e32 v48, v99, v61
	v_cndmask_b32_e64 v22, 0, v22, s[0:1]
	v_lshlrev_b32_e32 v26, 2, v102
	v_fmac_f32_e32 v48, v93, v60
	v_add3_u32 v88, 0, v22, v26
	v_add_f32_e32 v10, v10, v51
	ds_write_b32 v0, v29 offset:576
	ds_write2_b32 v88, v10, v20 offset1:72
	v_sub_f32_e32 v10, v55, v65
	v_mov_b32_e32 v20, v25
	v_add_f32_e32 v22, v39, v48
	v_fmac_f32_e32 v20, 0xbf5db3d7, v10
	v_fmac_f32_e32 v25, 0x3f5db3d7, v10
	v_add_f32_e32 v10, v23, v39
	v_fmac_f32_e32 v23, -0.5, v22
	v_sub_f32_e32 v22, v53, v63
	v_mov_b32_e32 v26, v23
	v_add_f32_e32 v28, v35, v45
	v_fmac_f32_e32 v81, v33, v91
	v_fmac_f32_e32 v26, 0xbf5db3d7, v22
	;; [unrolled: 1-line block ×3, first 2 shown]
	v_add_f32_e32 v22, v21, v35
	v_fmac_f32_e32 v21, -0.5, v28
	ds_write_b32 v88, v27 offset:576
	v_mul_u32_u24_e32 v27, 0x360, v103
	v_lshlrev_b32_sdwa v28, v13, v104 dst_sel:DWORD dst_unused:UNUSED_PAD src0_sel:DWORD src1_sel:BYTE_0
	v_add3_u32 v89, 0, v27, v28
	v_add_f32_e32 v11, v11, v52
	v_add3_u32 v90, 0, v5, v6
	v_add_f32_e32 v5, v10, v48
	v_add_f32_e32 v6, v68, v81
	ds_write2_b32 v89, v11, v20 offset1:72
	ds_write_b32 v89, v25 offset:576
	ds_write2_b32 v90, v5, v26 offset1:72
	v_add_f32_e32 v5, v7, v68
	v_fmac_f32_e32 v7, -0.5, v6
	v_add_f32_e32 v10, v22, v45
	v_sub_f32_e32 v22, v77, v83
	v_mov_b32_e32 v6, v7
	v_sub_f32_e32 v11, v49, v58
	v_mov_b32_e32 v20, v21
	v_add_f32_e32 v27, v37, v46
	v_fmac_f32_e32 v6, 0xbf5db3d7, v22
	v_fmac_f32_e32 v7, 0x3f5db3d7, v22
	ds_write_b32 v90, v23 offset:576
	v_mul_u32_u24_e32 v22, 0x360, v105
	v_lshlrev_b32_e32 v23, 2, v106
	v_fmac_f32_e32 v20, 0xbf5db3d7, v11
	v_fmac_f32_e32 v21, 0x3f5db3d7, v11
	v_add_f32_e32 v11, v19, v37
	v_fmac_f32_e32 v19, -0.5, v27
	v_add3_u32 v91, 0, v22, v23
	v_sub_f32_e32 v27, v50, v56
	v_mov_b32_e32 v28, v19
	v_add_f32_e32 v29, v31, v40
	ds_write2_b32 v91, v10, v20 offset1:72
	ds_write_b32 v91, v21 offset:576
	v_mul_u32_u24_e32 v10, 0x360, v107
	v_lshlrev_b32_e32 v20, 2, v108
	v_fmac_f32_e32 v28, 0xbf5db3d7, v27
	v_fmac_f32_e32 v19, 0x3f5db3d7, v27
	v_add_f32_e32 v27, v17, v31
	v_fmac_f32_e32 v17, -0.5, v29
	v_add_f32_e32 v11, v11, v46
	v_add3_u32 v92, 0, v10, v20
	v_sub_f32_e32 v29, v47, v57
	v_mov_b32_e32 v30, v17
	ds_write2_b32 v92, v11, v28 offset1:72
	ds_write_b32 v92, v19 offset:576
	v_mul_u32_u24_e32 v10, 0x360, v109
	v_lshlrev_b32_e32 v11, 2, v110
	v_fmac_f32_e32 v30, 0xbf5db3d7, v29
	v_fmac_f32_e32 v17, 0x3f5db3d7, v29
	v_add_f32_e32 v13, v27, v40
	v_add3_u32 v19, 0, v10, v11
	v_lshl_add_u32 v93, v111, 2, 0
	v_add_f32_e32 v5, v5, v81
	ds_write2_b32 v19, v13, v30 offset1:72
	ds_write_b32 v19, v17 offset:576
	v_add_u32_e32 v94, 0x1400, v93
	v_add_u32_e32 v17, 0x400, v0
	ds_write2_b32 v94, v5, v6 offset0:16 offset1:88
	ds_write_b32 v93, v7 offset:5760
	s_waitcnt lgkmcnt(0)
	; wave barrier
	s_waitcnt lgkmcnt(0)
	ds_read2_b32 v[20:21], v0 offset1:216
	ds_read2_b32 v[22:23], v17 offset0:176 offset1:239
	ds_read2_b32 v[29:30], v15 offset0:46 offset1:136
	;; [unrolled: 1-line block ×4, first 2 shown]
	ds_read_b32 v82, v18
	ds_read_b32 v74, v16
	ds_read_b32 v87, v0 offset:5688
	ds_read2_b32 v[33:34], v38 offset0:16 offset1:79
	ds_read2_b32 v[61:62], v17 offset0:23 offset1:86
	;; [unrolled: 1-line block ×4, first 2 shown]
	v_sub_u32_e32 v10, 0, v12
	v_add_u32_e32 v95, v8, v10
	v_cmp_gt_u32_e64 s[0:1], 27, v69
                                        ; implicit-def: $vgpr11
                                        ; implicit-def: $vgpr13
	s_and_saveexec_b64 s[6:7], s[0:1]
	s_cbranch_execz .LBB0_15
; %bb.14:
	v_add_u32_e32 v8, 0xd00, v0
	v_add_u32_e32 v6, 0x600, v0
	ds_read2_b32 v[10:11], v8 offset0:5 offset1:221
	v_add_u32_e32 v8, 0x1380, v0
	ds_read_b32 v5, v95
	ds_read2_b32 v[6:7], v6 offset0:21 offset1:237
	ds_read2_b32 v[12:13], v8 offset0:21 offset1:237
.LBB0_15:
	s_or_b64 exec, exec, s[6:7]
	v_add_f32_e32 v8, v80, v85
	v_add_f32_e32 v96, v8, v86
	v_add_f32_e32 v8, v85, v86
	v_fmac_f32_e32 v80, -0.5, v8
	v_sub_f32_e32 v8, v73, v84
	v_mov_b32_e32 v84, v80
	v_fmac_f32_e32 v84, 0x3f5db3d7, v8
	v_fmac_f32_e32 v80, 0xbf5db3d7, v8
	v_add_f32_e32 v8, v79, v54
	v_add_f32_e32 v85, v8, v64
	v_add_f32_e32 v8, v54, v64
	v_fmac_f32_e32 v79, -0.5, v8
	v_sub_f32_e32 v8, v41, v51
	v_mov_b32_e32 v41, v79
	v_fmac_f32_e32 v41, 0x3f5db3d7, v8
	v_fmac_f32_e32 v79, 0xbf5db3d7, v8
	;; [unrolled: 8-line block ×8, first 2 shown]
	s_waitcnt lgkmcnt(0)
	; wave barrier
	s_waitcnt lgkmcnt(0)
	ds_write2_b32 v0, v96, v84 offset1:72
	ds_write_b32 v0, v80 offset:576
	ds_write2_b32 v88, v85, v41 offset1:72
	ds_write_b32 v88, v79 offset:576
	;; [unrolled: 2-line block ×7, first 2 shown]
	ds_write2_b32 v94, v73, v8 offset0:16 offset1:88
	ds_write_b32 v93, v9 offset:5760
	s_waitcnt lgkmcnt(0)
	; wave barrier
	s_waitcnt lgkmcnt(0)
	ds_read2_b32 v[47:48], v0 offset1:216
	ds_read2_b32 v[49:50], v17 offset0:176 offset1:239
	ds_read2_b32 v[55:56], v15 offset0:46 offset1:136
	;; [unrolled: 1-line block ×8, first 2 shown]
	ds_read_b32 v24, v18
	ds_read_b32 v75, v16
	ds_read_b32 v31, v0 offset:5688
                                        ; implicit-def: $vgpr15
                                        ; implicit-def: $vgpr17
	s_and_saveexec_b64 s[6:7], s[0:1]
	s_cbranch_execz .LBB0_17
; %bb.16:
	v_add_u32_e32 v8, 0x600, v0
	v_add_u32_e32 v14, 0xd00, v0
	;; [unrolled: 1-line block ×3, first 2 shown]
	ds_read_b32 v73, v95
	ds_read2_b32 v[8:9], v8 offset0:21 offset1:237
	ds_read2_b32 v[14:15], v14 offset0:5 offset1:221
	;; [unrolled: 1-line block ×3, first 2 shown]
.LBB0_17:
	s_or_b64 exec, exec, s[6:7]
	s_and_saveexec_b64 s[6:7], vcc
	s_cbranch_execz .LBB0_20
; %bb.18:
	v_mul_i32_i24_e32 v18, 6, v72
	v_mov_b32_e32 v19, 0
	v_lshlrev_b64 v[35:36], 3, v[18:19]
	v_mov_b32_e32 v0, s9
	v_add_co_u32_e32 v45, vcc, s8, v35
	v_addc_co_u32_e32 v46, vcc, v0, v36, vcc
	global_load_dwordx4 v[35:38], v[45:46], off offset:1712
	global_load_dwordx4 v[39:42], v[45:46], off offset:1744
	;; [unrolled: 1-line block ×3, first 2 shown]
	v_mul_i32_i24_e32 v18, 6, v71
	v_mul_lo_u32 v32, s5, v3
	v_mul_lo_u32 v72, s4, v4
	v_mad_u64_u32 v[45:46], s[4:5], s4, v3, 0
	v_lshlrev_b64 v[3:4], 3, v[18:19]
	s_mov_b32 s5, 0xbf5ff5aa
	v_add_co_u32_e32 v3, vcc, s8, v3
	v_addc_co_u32_e32 v4, vcc, v0, v4, vcc
	global_load_dwordx4 v[83:86], v[3:4], off offset:1712
	global_load_dwordx4 v[88:91], v[3:4], off offset:1744
	;; [unrolled: 1-line block ×3, first 2 shown]
	v_add3_u32 v46, v46, v72, v32
	s_mov_b32 s4, 0x3eae86e6
	s_mov_b32 s6, 0xbf3bfb3b
	;; [unrolled: 1-line block ×4, first 2 shown]
	s_movk_i32 s10, 0xd8
	v_lshlrev_b64 v[45:46], 3, v[45:46]
	s_waitcnt vmcnt(5) lgkmcnt(5)
	v_mul_f32_e32 v0, v68, v36
	s_waitcnt vmcnt(4) lgkmcnt(0)
	v_mul_f32_e32 v3, v31, v42
	s_waitcnt vmcnt(3)
	v_mul_f32_e32 v4, v51, v79
	v_mul_f32_e32 v18, v66, v77
	;; [unrolled: 1-line block ×10, first 2 shown]
	v_fmac_f32_e32 v0, v62, v35
	v_fmac_f32_e32 v3, v87, v41
	;; [unrolled: 1-line block ×6, first 2 shown]
	v_fma_f32 v25, v31, v41, -v42
	v_fma_f32 v29, v68, v35, -v36
	v_fma_f32 v39, v64, v39, -v40
	v_fma_f32 v37, v55, v37, -v38
	v_fma_f32 v31, v66, v76, -v72
	v_fma_f32 v35, v51, v78, -v77
	v_sub_f32_e32 v38, v0, v3
	v_sub_f32_e32 v36, v4, v18
	;; [unrolled: 1-line block ×3, first 2 shown]
	v_add_f32_e32 v41, v29, v25
	v_add_f32_e32 v44, v37, v39
	;; [unrolled: 1-line block ×6, first 2 shown]
	v_sub_f32_e32 v29, v29, v25
	v_sub_f32_e32 v25, v35, v31
	;; [unrolled: 1-line block ×4, first 2 shown]
	v_add_f32_e32 v32, v36, v40
	v_add_f32_e32 v36, v41, v44
	v_sub_f32_e32 v60, v3, v18
	v_add_f32_e32 v62, v0, v18
	v_sub_f32_e32 v35, v42, v44
	v_sub_f32_e32 v55, v0, v3
	v_mul_f32_e32 v66, 0x3f08b237, v4
	v_add_f32_e32 v4, v42, v36
	v_mul_f32_e32 v60, 0x3d64c772, v60
	v_add_f32_e32 v3, v3, v62
	;; [unrolled: 2-line block ×3, first 2 shown]
	v_mov_b32_e32 v24, v60
	v_add_f32_e32 v35, v82, v3
	v_sub_f32_e32 v51, v41, v42
	v_mul_f32_e32 v42, 0x3f4a47b2, v55
	v_fmac_f32_e32 v24, 0x3f4a47b2, v55
	v_mov_b32_e32 v55, v35
	v_fmac_f32_e32 v55, 0xbf955555, v3
	v_add_f32_e32 v76, v24, v55
	v_sub_f32_e32 v24, v37, v39
	v_sub_f32_e32 v3, v25, v24
	v_mul_f32_e32 v37, 0x3f08b237, v3
	v_add_f32_e32 v3, v25, v24
	v_sub_f32_e32 v64, v29, v25
	v_add_f32_e32 v32, v38, v32
	v_mov_b32_e32 v72, v71
	v_add_f32_e32 v39, v29, v3
	v_sub_f32_e32 v38, v40, v38
	v_sub_f32_e32 v29, v24, v29
	v_mul_f32_e32 v68, 0x3f4a47b2, v51
	v_mov_b32_e32 v62, v66
	v_fmac_f32_e32 v72, 0x3f4a47b2, v51
	v_mov_b32_e32 v51, v36
	v_mul_f32_e32 v25, 0xbf5ff5aa, v38
	v_sub_f32_e32 v0, v18, v0
	v_mul_f32_e32 v24, 0xbf5ff5aa, v29
	v_fmac_f32_e32 v62, 0xbeae86e6, v31
	v_fmac_f32_e32 v51, 0xbf955555, v4
	v_mov_b32_e32 v77, v37
	v_fma_f32 v40, v31, s4, -v25
	v_sub_f32_e32 v31, v44, v41
	v_fma_f32 v18, v0, s6, -v42
	v_fma_f32 v42, v64, s4, -v24
	;; [unrolled: 1-line block ×4, first 2 shown]
	v_fmac_f32_e32 v62, 0xbee1c552, v32
	v_add_f32_e32 v72, v72, v51
	v_fmac_f32_e32 v77, 0xbeae86e6, v64
	v_fma_f32 v25, v31, s6, -v68
	v_add_f32_e32 v18, v18, v55
	v_fmac_f32_e32 v42, 0xbee1c552, v39
	v_fma_f32 v31, v31, s7, -v71
	v_fmac_f32_e32 v29, 0xbee1c552, v39
	v_add_f32_e32 v0, v0, v55
	v_add_f32_e32 v4, v62, v72
	v_fmac_f32_e32 v77, 0xbee1c552, v39
	v_sub_f32_e32 v24, v18, v42
	v_add_f32_e32 v44, v31, v51
	v_add_f32_e32 v31, v29, v0
	v_sub_f32_e32 v37, v0, v29
	v_add_f32_e32 v39, v42, v18
	v_sub_f32_e32 v42, v72, v62
	s_waitcnt vmcnt(2)
	v_mul_f32_e32 v0, v67, v84
	s_waitcnt vmcnt(1)
	v_mul_f32_e32 v18, v58, v91
	;; [unrolled: 2-line block ×3, first 2 shown]
	v_mul_f32_e32 v62, v65, v93
	v_mul_f32_e32 v71, v50, v86
	;; [unrolled: 1-line block ×3, first 2 shown]
	v_fma_f32 v38, v38, s5, -v66
	v_fmac_f32_e32 v0, v61, v83
	v_fmac_f32_e32 v18, v34, v90
	;; [unrolled: 1-line block ×6, first 2 shown]
	v_add_f32_e32 v41, v25, v51
	v_fmac_f32_e32 v38, 0xbee1c552, v32
	v_sub_f32_e32 v51, v0, v18
	v_sub_f32_e32 v29, v55, v62
	;; [unrolled: 1-line block ×3, first 2 shown]
	v_fmac_f32_e32 v40, 0xbee1c552, v32
	v_sub_f32_e32 v32, v44, v38
	v_add_f32_e32 v38, v38, v44
	v_sub_f32_e32 v68, v51, v29
	v_sub_f32_e32 v44, v29, v80
	v_add_f32_e32 v29, v29, v80
	v_add_f32_e32 v87, v51, v29
	v_mul_f32_e32 v29, v34, v91
	v_fma_f32 v34, v58, v90, -v29
	v_mul_f32_e32 v29, v61, v84
	v_fma_f32 v83, v67, v83, -v29
	;; [unrolled: 2-line block ×3, first 2 shown]
	v_mul_u32_u24_e32 v29, 6, v69
	v_lshlrev_b32_e32 v29, 3, v29
	global_load_dwordx4 v[58:61], v29, s[8:9] offset:1712
	v_sub_f32_e32 v3, v76, v77
	v_add_f32_e32 v25, v40, v41
	v_sub_f32_e32 v40, v41, v40
	v_add_f32_e32 v41, v77, v76
	global_load_dwordx4 v[76:79], v29, s[8:9] offset:1728
	global_load_dwordx4 v[64:67], v29, s[8:9] offset:1744
	v_mul_f32_e32 v28, v28, v95
	v_mul_f32_e32 v43, v43, v89
	;; [unrolled: 1-line block ×3, first 2 shown]
	v_fma_f32 v54, v54, v94, -v28
	v_fma_f32 v43, v63, v88, -v43
	;; [unrolled: 1-line block ×3, first 2 shown]
	v_add_f32_e32 v28, v54, v90
	v_add_f32_e32 v50, v23, v43
	;; [unrolled: 1-line block ×3, first 2 shown]
	v_sub_f32_e32 v29, v28, v50
	v_mul_f32_e32 v63, 0x3d64c772, v29
	v_add_f32_e32 v29, v84, v50
	v_mul_f32_e32 v81, 0x3f08b237, v44
	v_sub_f32_e32 v44, v84, v28
	v_add_f32_e32 v28, v28, v29
	v_add_f32_e32 v0, v0, v18
	;; [unrolled: 1-line block ×5, first 2 shown]
	v_sub_f32_e32 v71, v18, v62
	v_mov_b32_e32 v75, v29
	v_mul_f32_e32 v71, 0x3d64c772, v71
	v_fmac_f32_e32 v75, 0xbf955555, v28
	v_sub_f32_e32 v28, v0, v18
	v_mov_b32_e32 v72, v71
	v_mul_f32_e32 v55, 0x3f4a47b2, v28
	v_fmac_f32_e32 v72, 0x3f4a47b2, v28
	v_add_f32_e32 v28, v0, v62
	v_add_f32_e32 v18, v18, v28
	;; [unrolled: 1-line block ×3, first 2 shown]
	v_sub_f32_e32 v54, v54, v90
	v_sub_f32_e32 v23, v23, v43
	v_mul_f32_e32 v91, 0x3f4a47b2, v44
	v_mov_b32_e32 v74, v28
	v_sub_f32_e32 v34, v83, v34
	v_sub_f32_e32 v43, v54, v23
	;; [unrolled: 1-line block ×3, first 2 shown]
	v_fmac_f32_e32 v74, 0xbf955555, v18
	v_mul_f32_e32 v83, 0x3f08b237, v43
	v_add_f32_e32 v43, v54, v23
	v_sub_f32_e32 v80, v80, v51
	v_fma_f32 v50, v84, s6, -v91
	v_sub_f32_e32 v0, v62, v0
	v_sub_f32_e32 v23, v23, v34
	v_mov_b32_e32 v82, v81
	v_mov_b32_e32 v85, v63
	v_add_f32_e32 v18, v72, v74
	v_sub_f32_e32 v72, v34, v54
	v_mov_b32_e32 v86, v83
	v_add_f32_e32 v54, v34, v43
	v_mul_f32_e32 v51, 0xbf5ff5aa, v80
	v_add_f32_e32 v88, v50, v75
	v_fma_f32 v50, v0, s6, -v55
	v_mul_f32_e32 v34, 0xbf5ff5aa, v23
	v_fma_f32 v55, v84, s7, -v63
	v_fma_f32 v63, v80, s5, -v81
	v_fma_f32 v23, v23, s5, -v83
	v_fma_f32 v0, v0, s7, -v71
	v_fmac_f32_e32 v82, 0xbeae86e6, v68
	v_fmac_f32_e32 v85, 0x3f4a47b2, v44
	;; [unrolled: 1-line block ×3, first 2 shown]
	v_fma_f32 v68, v68, s4, -v51
	v_fma_f32 v34, v72, s4, -v34
	v_add_f32_e32 v62, v55, v75
	v_fmac_f32_e32 v63, 0xbee1c552, v87
	v_fmac_f32_e32 v23, 0xbee1c552, v54
	v_add_f32_e32 v0, v0, v74
	v_fmac_f32_e32 v82, 0xbee1c552, v87
	v_add_f32_e32 v85, v85, v75
	v_fmac_f32_e32 v86, 0xbee1c552, v54
	v_fmac_f32_e32 v68, 0xbee1c552, v87
	;; [unrolled: 1-line block ×3, first 2 shown]
	v_sub_f32_e32 v55, v62, v63
	v_add_f32_e32 v54, v23, v0
	v_add_f32_e32 v63, v63, v62
	v_sub_f32_e32 v62, v0, v23
	s_waitcnt vmcnt(2)
	v_mul_f32_e32 v0, v48, v59
	v_add_f32_e32 v44, v82, v85
	v_sub_f32_e32 v43, v18, v86
	v_add_f32_e32 v51, v68, v88
	v_add_f32_e32 v89, v50, v74
	v_sub_f32_e32 v72, v88, v68
	v_sub_f32_e32 v75, v85, v82
	v_add_f32_e32 v74, v86, v18
	v_fmac_f32_e32 v0, v21, v58
	s_waitcnt vmcnt(0)
	v_mul_f32_e32 v18, v57, v67
	v_mul_f32_e32 v68, v53, v79
	;; [unrolled: 1-line block ×6, first 2 shown]
	v_fmac_f32_e32 v18, v33, v66
	v_fmac_f32_e32 v68, v27, v78
	;; [unrolled: 1-line block ×5, first 2 shown]
	v_fma_f32 v48, v48, v58, -v21
	v_mul_f32_e32 v21, v30, v77
	v_sub_f32_e32 v50, v89, v34
	v_add_f32_e32 v71, v34, v89
	v_sub_f32_e32 v34, v0, v18
	v_sub_f32_e32 v23, v68, v80
	;; [unrolled: 1-line block ×3, first 2 shown]
	v_fma_f32 v30, v56, v76, -v21
	v_mul_f32_e32 v21, v27, v79
	v_mul_f32_e32 v26, v26, v65
	;; [unrolled: 1-line block ×3, first 2 shown]
	v_sub_f32_e32 v81, v34, v23
	v_sub_f32_e32 v85, v23, v84
	v_add_f32_e32 v23, v23, v84
	v_fma_f32 v27, v53, v78, -v21
	v_fma_f32 v26, v52, v64, -v26
	;; [unrolled: 1-line block ×3, first 2 shown]
	v_add_f32_e32 v87, v34, v23
	v_mul_f32_e32 v23, v33, v67
	v_add_f32_e32 v21, v27, v30
	v_add_f32_e32 v49, v22, v26
	v_fma_f32 v33, v57, v66, -v23
	v_sub_f32_e32 v52, v21, v49
	v_add_f32_e32 v57, v48, v33
	v_mul_f32_e32 v52, 0x3d64c772, v52
	v_sub_f32_e32 v23, v57, v21
	v_mov_b32_e32 v56, v52
	v_mul_f32_e32 v53, 0x3f4a47b2, v23
	v_fmac_f32_e32 v56, 0x3f4a47b2, v23
	v_add_f32_e32 v23, v57, v49
	v_add_f32_e32 v23, v21, v23
	v_sub_f32_e32 v27, v27, v30
	v_sub_f32_e32 v26, v22, v26
	v_add_f32_e32 v21, v47, v23
	v_sub_f32_e32 v33, v48, v33
	v_sub_f32_e32 v22, v27, v26
	;; [unrolled: 1-line block ×3, first 2 shown]
	v_mov_b32_e32 v47, v21
	v_add_f32_e32 v0, v0, v18
	v_add_f32_e32 v18, v68, v80
	;; [unrolled: 1-line block ×3, first 2 shown]
	v_sub_f32_e32 v30, v33, v27
	v_mul_f32_e32 v48, 0x3f08b237, v22
	v_add_f32_e32 v22, v27, v26
	v_mul_f32_e32 v27, 0xbf5ff5aa, v34
	v_sub_f32_e32 v49, v49, v57
	v_fmac_f32_e32 v47, 0xbf955555, v23
	v_sub_f32_e32 v61, v18, v60
	v_fma_f32 v66, v81, s4, -v27
	v_fma_f32 v27, v49, s6, -v53
	;; [unrolled: 1-line block ×3, first 2 shown]
	v_add_f32_e32 v58, v56, v47
	v_mul_f32_e32 v61, 0x3d64c772, v61
	v_add_f32_e32 v57, v27, v47
	v_add_f32_e32 v49, v49, v47
	v_lshrrev_b32_e32 v47, 3, v69
	v_sub_f32_e32 v56, v0, v18
	v_mov_b32_e32 v64, v61
	v_mul_hi_u32 v47, v47, s11
	v_mul_f32_e32 v59, 0x3f4a47b2, v56
	v_fmac_f32_e32 v64, 0x3f4a47b2, v56
	v_add_f32_e32 v56, v0, v60
	v_add_f32_e32 v18, v18, v56
	;; [unrolled: 1-line block ×3, first 2 shown]
	v_mov_b32_e32 v56, v20
	v_mul_lo_u32 v47, v47, s10
	v_fmac_f32_e32 v56, 0xbf955555, v18
	v_add_f32_e32 v65, v33, v22
	v_sub_f32_e32 v33, v26, v33
	v_add_f32_e32 v18, v64, v56
	v_mov_b32_e32 v64, v48
	v_mul_f32_e32 v26, 0xbf5ff5aa, v33
	v_fmac_f32_e32 v64, 0xbeae86e6, v30
	v_sub_f32_e32 v0, v60, v0
	v_fma_f32 v30, v30, s4, -v26
	v_fma_f32 v60, v33, s5, -v48
	v_fmac_f32_e32 v64, 0xbee1c552, v65
	v_fmac_f32_e32 v30, 0xbee1c552, v65
	;; [unrolled: 1-line block ×3, first 2 shown]
	v_sub_u32_e32 v65, v69, v47
	v_mad_u64_u32 v[47:48], s[12:13], s2, v65, 0
	v_mul_f32_e32 v85, 0x3f08b237, v85
	v_fma_f32 v53, v0, s6, -v59
	v_fma_f32 v52, v34, s5, -v85
	;; [unrolled: 1-line block ×3, first 2 shown]
	v_mov_b32_e32 v86, v85
	v_fmac_f32_e32 v52, 0xbee1c552, v87
	v_add_f32_e32 v0, v0, v56
	v_fmac_f32_e32 v86, 0xbeae86e6, v81
	v_add_f32_e32 v59, v53, v56
	v_sub_f32_e32 v34, v49, v52
	v_add_f32_e32 v33, v60, v0
	v_add_f32_e32 v53, v52, v49
	v_sub_f32_e32 v52, v0, v60
	v_mov_b32_e32 v0, v48
	v_fmac_f32_e32 v86, 0xbee1c552, v87
	v_mad_u64_u32 v[48:49], s[12:13], s3, v65, v[0:1]
	v_add_f32_e32 v23, v86, v58
	v_sub_f32_e32 v22, v18, v64
	v_sub_f32_e32 v26, v59, v30
	v_add_f32_e32 v56, v30, v59
	v_sub_f32_e32 v59, v58, v86
	v_add_f32_e32 v58, v64, v18
	v_mov_b32_e32 v0, s15
	v_add_co_u32_e32 v18, vcc, s14, v45
	v_add_u32_e32 v49, 0xd8, v65
	v_addc_co_u32_e32 v30, vcc, v0, v46, vcc
	v_mad_u64_u32 v[45:46], s[12:13], s2, v49, 0
	v_lshlrev_b64 v[0:1], 3, v[1:2]
	v_lshlrev_b64 v[47:48], 3, v[47:48]
	v_mov_b32_e32 v2, v46
	v_add_co_u32_e32 v0, vcc, v18, v0
	v_mad_u64_u32 v[60:61], s[12:13], s3, v49, v[2:3]
	v_addc_co_u32_e32 v1, vcc, v30, v1, vcc
	v_add_co_u32_e32 v46, vcc, v0, v47
	v_addc_co_u32_e32 v47, vcc, v1, v48, vcc
	global_store_dwordx2 v[46:47], v[20:21], off
	v_mov_b32_e32 v46, v60
	v_add_u32_e32 v18, 0x1b0, v65
	v_lshlrev_b64 v[20:21], 3, v[45:46]
	v_mad_u64_u32 v[45:46], s[12:13], s2, v18, 0
	v_add_co_u32_e32 v20, vcc, v0, v20
	v_mov_b32_e32 v2, v46
	v_mad_u64_u32 v[46:47], s[12:13], s3, v18, v[2:3]
	v_add_u32_e32 v18, 0x288, v65
	v_mad_u64_u32 v[47:48], s[12:13], s2, v18, 0
	v_addc_co_u32_e32 v21, vcc, v1, v21, vcc
	v_mov_b32_e32 v2, v48
	global_store_dwordx2 v[20:21], v[58:59], off
	v_lshlrev_b64 v[20:21], 3, v[45:46]
	v_mad_u64_u32 v[45:46], s[12:13], s3, v18, v[2:3]
	v_add_u32_e32 v18, 0x360, v65
	v_fmac_f32_e32 v66, 0xbee1c552, v87
	v_mov_b32_e32 v48, v45
	v_mad_u64_u32 v[45:46], s[12:13], s2, v18, 0
	v_add_co_u32_e32 v20, vcc, v0, v20
	v_add_f32_e32 v27, v66, v57
	v_sub_f32_e32 v57, v57, v66
	v_addc_co_u32_e32 v21, vcc, v1, v21, vcc
	v_mov_b32_e32 v2, v46
	global_store_dwordx2 v[20:21], v[56:57], off
	v_lshlrev_b64 v[20:21], 3, v[47:48]
	v_mad_u64_u32 v[46:47], s[12:13], s3, v18, v[2:3]
	v_add_u32_e32 v18, 0x438, v65
	v_mad_u64_u32 v[47:48], s[12:13], s2, v18, 0
	v_add_co_u32_e32 v20, vcc, v0, v20
	v_addc_co_u32_e32 v21, vcc, v1, v21, vcc
	v_mov_b32_e32 v2, v48
	global_store_dwordx2 v[20:21], v[52:53], off
	v_lshlrev_b64 v[20:21], 3, v[45:46]
	v_mad_u64_u32 v[45:46], s[12:13], s3, v18, v[2:3]
	v_add_co_u32_e32 v20, vcc, v0, v20
	v_add_u32_e32 v30, 63, v69
	v_addc_co_u32_e32 v21, vcc, v1, v21, vcc
	v_mov_b32_e32 v48, v45
	v_lshrrev_b32_e32 v2, 3, v30
	global_store_dwordx2 v[20:21], v[33:34], off
	v_lshlrev_b64 v[20:21], 3, v[47:48]
	v_mul_hi_u32 v45, v2, s11
	v_add_u32_e32 v18, 0x510, v65
	v_add_co_u32_e32 v20, vcc, v0, v20
	v_mad_u64_u32 v[33:34], s[12:13], s2, v18, 0
	v_addc_co_u32_e32 v21, vcc, v1, v21, vcc
	global_store_dwordx2 v[20:21], v[26:27], off
	v_mul_lo_u32 v26, v45, s10
	v_mov_b32_e32 v2, v34
	v_mad_u64_u32 v[20:21], s[12:13], s3, v18, v[2:3]
	v_sub_u32_e32 v2, v30, v26
	s_movk_i32 s14, 0x5e8
	v_mad_u64_u32 v[26:27], s[12:13], v45, s14, v[2:3]
	v_mov_b32_e32 v34, v20
	v_lshlrev_b64 v[20:21], 3, v[33:34]
	v_mad_u64_u32 v[33:34], s[12:13], s2, v26, 0
	v_add_u32_e32 v18, 0xd8, v26
	v_add_co_u32_e32 v20, vcc, v0, v20
	v_mov_b32_e32 v2, v34
	v_mad_u64_u32 v[45:46], s[12:13], s3, v26, v[2:3]
	v_mad_u64_u32 v[46:47], s[12:13], s2, v18, 0
	v_addc_co_u32_e32 v21, vcc, v1, v21, vcc
	v_mov_b32_e32 v2, v47
	global_store_dwordx2 v[20:21], v[22:23], off
	v_mad_u64_u32 v[22:23], s[12:13], s3, v18, v[2:3]
	v_add_u32_e32 v18, 0x1b0, v26
	v_mov_b32_e32 v34, v45
	v_mov_b32_e32 v47, v22
	v_mad_u64_u32 v[22:23], s[12:13], s2, v18, 0
	v_lshlrev_b64 v[20:21], 3, v[33:34]
	v_add_co_u32_e32 v20, vcc, v0, v20
	v_addc_co_u32_e32 v21, vcc, v1, v21, vcc
	v_mov_b32_e32 v2, v23
	global_store_dwordx2 v[20:21], v[28:29], off
	v_mad_u64_u32 v[27:28], s[12:13], s3, v18, v[2:3]
	v_add_u32_e32 v18, 0x288, v26
	v_mad_u64_u32 v[28:29], s[12:13], s2, v18, 0
	v_lshlrev_b64 v[20:21], 3, v[46:47]
	v_mov_b32_e32 v23, v27
	v_add_co_u32_e32 v20, vcc, v0, v20
	v_addc_co_u32_e32 v21, vcc, v1, v21, vcc
	v_mov_b32_e32 v2, v29
	global_store_dwordx2 v[20:21], v[74:75], off
	v_lshlrev_b64 v[20:21], 3, v[22:23]
	v_mad_u64_u32 v[22:23], s[12:13], s3, v18, v[2:3]
	v_add_u32_e32 v18, 0x360, v26
	v_add_co_u32_e32 v20, vcc, v0, v20
	v_mov_b32_e32 v29, v22
	v_mad_u64_u32 v[22:23], s[12:13], s2, v18, 0
	v_addc_co_u32_e32 v21, vcc, v1, v21, vcc
	v_mov_b32_e32 v2, v23
	global_store_dwordx2 v[20:21], v[71:72], off
	v_lshlrev_b64 v[20:21], 3, v[28:29]
	v_mad_u64_u32 v[27:28], s[12:13], s3, v18, v[2:3]
	v_add_u32_e32 v18, 0x438, v26
	v_mad_u64_u32 v[28:29], s[12:13], s2, v18, 0
	v_add_co_u32_e32 v20, vcc, v0, v20
	v_addc_co_u32_e32 v21, vcc, v1, v21, vcc
	v_mov_b32_e32 v23, v27
	v_mov_b32_e32 v2, v29
	global_store_dwordx2 v[20:21], v[62:63], off
	v_lshlrev_b64 v[20:21], 3, v[22:23]
	v_mad_u64_u32 v[22:23], s[12:13], s3, v18, v[2:3]
	v_add_u32_e32 v18, 0x7e, v69
	v_lshrrev_b32_e32 v2, 3, v18
	v_mul_hi_u32 v27, v2, s11
	v_add_co_u32_e32 v20, vcc, v0, v20
	v_addc_co_u32_e32 v21, vcc, v1, v21, vcc
	v_mov_b32_e32 v29, v22
	global_store_dwordx2 v[20:21], v[54:55], off
	v_lshlrev_b64 v[20:21], 3, v[28:29]
	v_add_u32_e32 v28, 0x510, v26
	v_mul_lo_u32 v26, v27, s10
	v_mad_u64_u32 v[22:23], s[12:13], s2, v28, 0
	v_add_co_u32_e32 v20, vcc, v0, v20
	v_sub_u32_e32 v18, v18, v26
	v_mad_u64_u32 v[26:27], s[12:13], v27, s14, v[18:19]
	v_mov_b32_e32 v2, v23
	v_mad_u64_u32 v[27:28], s[12:13], s3, v28, v[2:3]
	v_mad_u64_u32 v[28:29], s[12:13], s2, v26, 0
	v_addc_co_u32_e32 v21, vcc, v1, v21, vcc
	v_mov_b32_e32 v23, v27
	v_mov_b32_e32 v2, v29
	global_store_dwordx2 v[20:21], v[50:51], off
	v_lshlrev_b64 v[20:21], 3, v[22:23]
	v_mad_u64_u32 v[22:23], s[12:13], s3, v26, v[2:3]
	v_add_u32_e32 v18, 0xd8, v26
	v_add_co_u32_e32 v20, vcc, v0, v20
	v_mov_b32_e32 v29, v22
	v_mad_u64_u32 v[22:23], s[12:13], s2, v18, 0
	v_addc_co_u32_e32 v21, vcc, v1, v21, vcc
	v_mov_b32_e32 v2, v23
	global_store_dwordx2 v[20:21], v[43:44], off
	v_lshlrev_b64 v[20:21], 3, v[28:29]
	v_mad_u64_u32 v[27:28], s[12:13], s3, v18, v[2:3]
	v_add_u32_e32 v18, 0x1b0, v26
	v_mad_u64_u32 v[28:29], s[12:13], s2, v18, 0
	v_add_co_u32_e32 v20, vcc, v0, v20
	v_addc_co_u32_e32 v21, vcc, v1, v21, vcc
	v_mov_b32_e32 v23, v27
	v_mov_b32_e32 v2, v29
	global_store_dwordx2 v[20:21], v[35:36], off
	v_lshlrev_b64 v[20:21], 3, v[22:23]
	v_mad_u64_u32 v[22:23], s[12:13], s3, v18, v[2:3]
	v_add_u32_e32 v18, 0x288, v26
	v_add_co_u32_e32 v20, vcc, v0, v20
	v_mov_b32_e32 v29, v22
	v_mad_u64_u32 v[22:23], s[12:13], s2, v18, 0
	v_addc_co_u32_e32 v21, vcc, v1, v21, vcc
	v_mov_b32_e32 v2, v23
	global_store_dwordx2 v[20:21], v[41:42], off
	v_lshlrev_b64 v[20:21], 3, v[28:29]
	v_mad_u64_u32 v[27:28], s[12:13], s3, v18, v[2:3]
	v_add_u32_e32 v18, 0x360, v26
	v_mad_u64_u32 v[28:29], s[12:13], s2, v18, 0
	v_add_co_u32_e32 v20, vcc, v0, v20
	;; [unrolled: 18-line block ×3, first 2 shown]
	v_addc_co_u32_e32 v21, vcc, v1, v21, vcc
	v_mov_b32_e32 v23, v27
	v_mov_b32_e32 v2, v29
	global_store_dwordx2 v[20:21], v[31:32], off
	v_lshlrev_b64 v[20:21], 3, v[22:23]
	v_mad_u64_u32 v[22:23], s[12:13], s3, v18, v[2:3]
	v_add_co_u32_e32 v20, vcc, v0, v20
	v_addc_co_u32_e32 v21, vcc, v1, v21, vcc
	v_mov_b32_e32 v29, v22
	global_store_dwordx2 v[20:21], v[24:25], off
	v_lshlrev_b64 v[20:21], 3, v[28:29]
	v_add_u32_e32 v2, 0xbd, v69
	v_add_co_u32_e32 v20, vcc, v0, v20
	v_addc_co_u32_e32 v21, vcc, v1, v21, vcc
	v_cmp_gt_u32_e32 vcc, s10, v2
	global_store_dwordx2 v[20:21], v[3:4], off
	s_and_b64 exec, exec, vcc
	s_cbranch_execz .LBB0_20
; %bb.19:
	v_subrev_u32_e32 v3, 27, v69
	v_cndmask_b32_e64 v3, v3, v70, s[0:1]
	v_mul_i32_i24_e32 v18, 6, v3
	v_lshlrev_b64 v[3:4], 3, v[18:19]
	v_mov_b32_e32 v18, s9
	v_add_co_u32_e32 v3, vcc, s8, v3
	v_addc_co_u32_e32 v4, vcc, v18, v4, vcc
	global_load_dwordx4 v[18:21], v[3:4], off offset:1712
	global_load_dwordx4 v[22:25], v[3:4], off offset:1728
	;; [unrolled: 1-line block ×3, first 2 shown]
	s_waitcnt vmcnt(2)
	v_mul_f32_e32 v3, v8, v19
	v_mul_f32_e32 v4, v6, v19
	;; [unrolled: 1-line block ×4, first 2 shown]
	s_waitcnt vmcnt(1)
	v_mul_f32_e32 v30, v14, v23
	s_waitcnt vmcnt(0)
	v_mul_f32_e32 v32, v16, v27
	v_mul_f32_e32 v27, v12, v27
	;; [unrolled: 1-line block ×7, first 2 shown]
	v_fmac_f32_e32 v3, v6, v18
	v_fma_f32 v4, v8, v18, -v4
	v_fmac_f32_e32 v19, v7, v20
	v_fma_f32 v6, v9, v20, -v21
	v_fmac_f32_e32 v30, v10, v22
	v_fmac_f32_e32 v32, v12, v26
	v_fma_f32 v9, v16, v26, -v27
	v_fmac_f32_e32 v33, v13, v28
	v_fma_f32 v10, v17, v28, -v29
	v_fma_f32 v7, v14, v22, -v23
	v_fmac_f32_e32 v31, v11, v24
	v_fma_f32 v8, v15, v24, -v25
	v_add_f32_e32 v11, v3, v33
	v_add_f32_e32 v12, v4, v10
	v_sub_f32_e32 v4, v4, v10
	v_add_f32_e32 v10, v19, v32
	v_add_f32_e32 v13, v6, v9
	v_sub_f32_e32 v14, v19, v32
	v_sub_f32_e32 v6, v6, v9
	v_add_f32_e32 v9, v30, v31
	v_add_f32_e32 v15, v7, v8
	v_sub_f32_e32 v16, v31, v30
	;; [unrolled: 4-line block ×3, first 2 shown]
	v_sub_f32_e32 v18, v10, v11
	v_sub_f32_e32 v19, v13, v12
	;; [unrolled: 1-line block ×6, first 2 shown]
	v_add_f32_e32 v20, v16, v14
	v_add_f32_e32 v21, v7, v6
	v_sub_f32_e32 v23, v7, v6
	v_sub_f32_e32 v6, v6, v4
	v_add_f32_e32 v8, v9, v8
	v_add_f32_e32 v9, v15, v17
	v_sub_f32_e32 v22, v16, v14
	v_sub_f32_e32 v16, v3, v16
	;; [unrolled: 1-line block ×4, first 2 shown]
	v_add_f32_e32 v15, v20, v3
	v_add_f32_e32 v17, v21, v4
	v_mul_f32_e32 v11, 0x3f4a47b2, v11
	v_mul_f32_e32 v12, 0x3f4a47b2, v12
	;; [unrolled: 1-line block ×6, first 2 shown]
	v_add_f32_e32 v3, v5, v8
	v_add_f32_e32 v4, v73, v9
	v_fma_f32 v5, v18, s7, -v20
	v_fma_f32 v20, v19, s7, -v21
	;; [unrolled: 1-line block ×3, first 2 shown]
	v_fmac_f32_e32 v11, 0x3d64c772, v10
	v_fma_f32 v10, v19, s6, -v12
	v_fmac_f32_e32 v12, 0x3d64c772, v13
	v_fma_f32 v13, v6, s5, -v23
	;; [unrolled: 2-line block ×3, first 2 shown]
	v_mov_b32_e32 v6, v3
	v_mov_b32_e32 v7, v4
	v_mul_f32_e32 v22, 0x3f08b237, v22
	v_mul_f32_e32 v24, 0xbf5ff5aa, v14
	v_fmac_f32_e32 v6, 0xbf955555, v8
	v_fmac_f32_e32 v7, 0xbf955555, v9
	v_fma_f32 v14, v14, s5, -v22
	v_fmac_f32_e32 v22, 0xbeae86e6, v16
	v_fma_f32 v16, v16, s4, -v24
	v_add_f32_e32 v21, v11, v6
	v_add_f32_e32 v24, v12, v7
	v_mad_u64_u32 v[11:12], s[0:1], s2, v2, 0
	v_add_f32_e32 v25, v5, v6
	v_fmac_f32_e32 v13, 0xbee1c552, v17
	v_add_f32_e32 v18, v18, v6
	v_fmac_f32_e32 v19, 0xbee1c552, v17
	v_sub_f32_e32 v9, v25, v13
	v_add_f32_e32 v13, v13, v25
	v_add_f32_e32 v20, v20, v7
	;; [unrolled: 1-line block ×3, first 2 shown]
	v_fmac_f32_e32 v22, 0xbee1c552, v15
	v_fmac_f32_e32 v23, 0xbee1c552, v17
	;; [unrolled: 1-line block ×4, first 2 shown]
	v_add_f32_e32 v7, v19, v18
	v_sub_f32_e32 v15, v18, v19
	v_mad_u64_u32 v[17:18], s[0:1], s3, v2, v[12:13]
	v_add_f32_e32 v5, v23, v21
	v_add_f32_e32 v10, v14, v20
	v_mov_b32_e32 v12, v17
	v_add_u32_e32 v17, 0x195, v69
	v_sub_f32_e32 v14, v20, v14
	v_sub_f32_e32 v18, v21, v23
	v_mad_u64_u32 v[20:21], s[0:1], s2, v17, 0
	v_sub_f32_e32 v6, v24, v22
	v_add_f32_e32 v19, v22, v24
	v_mov_b32_e32 v2, v21
	v_lshlrev_b64 v[11:12], 3, v[11:12]
	v_mad_u64_u32 v[21:22], s[0:1], s3, v17, v[2:3]
	v_add_co_u32_e32 v11, vcc, v0, v11
	v_addc_co_u32_e32 v12, vcc, v1, v12, vcc
	v_add_u32_e32 v17, 0x26d, v69
	v_mad_u64_u32 v[22:23], s[0:1], s2, v17, 0
	global_store_dwordx2 v[11:12], v[3:4], off
	v_lshlrev_b64 v[2:3], 3, v[20:21]
	v_mov_b32_e32 v4, v23
	v_add_co_u32_e32 v2, vcc, v0, v2
	v_addc_co_u32_e32 v3, vcc, v1, v3, vcc
	global_store_dwordx2 v[2:3], v[5:6], off
	v_add_u32_e32 v6, 0x345, v69
	v_mad_u64_u32 v[11:12], s[0:1], s3, v17, v[4:5]
	v_mad_u64_u32 v[4:5], s[0:1], s2, v6, 0
	v_mov_b32_e32 v23, v11
	v_lshlrev_b64 v[2:3], 3, v[22:23]
	v_mad_u64_u32 v[5:6], s[0:1], s3, v6, v[5:6]
	v_add_u32_e32 v6, 0x41d, v69
	v_mad_u64_u32 v[11:12], s[0:1], s2, v6, 0
	v_add_co_u32_e32 v2, vcc, v0, v2
	v_sub_f32_e32 v8, v26, v16
	v_addc_co_u32_e32 v3, vcc, v1, v3, vcc
	global_store_dwordx2 v[2:3], v[7:8], off
	v_lshlrev_b64 v[2:3], 3, v[4:5]
	v_mov_b32_e32 v4, v12
	v_mad_u64_u32 v[4:5], s[0:1], s3, v6, v[4:5]
	v_add_u32_e32 v6, 0x4f5, v69
	v_add_co_u32_e32 v2, vcc, v0, v2
	v_mov_b32_e32 v12, v4
	v_mad_u64_u32 v[4:5], s[0:1], s2, v6, 0
	v_addc_co_u32_e32 v3, vcc, v1, v3, vcc
	v_mad_u64_u32 v[5:6], s[0:1], s3, v6, v[5:6]
	v_add_u32_e32 v8, 0x5cd, v69
	global_store_dwordx2 v[2:3], v[9:10], off
	v_lshlrev_b64 v[2:3], 3, v[11:12]
	v_mad_u64_u32 v[6:7], s[0:1], s2, v8, 0
	v_add_co_u32_e32 v2, vcc, v0, v2
	v_addc_co_u32_e32 v3, vcc, v1, v3, vcc
	global_store_dwordx2 v[2:3], v[13:14], off
	v_lshlrev_b64 v[2:3], 3, v[4:5]
	v_mov_b32_e32 v4, v7
	v_mad_u64_u32 v[4:5], s[0:1], s3, v8, v[4:5]
	v_add_co_u32_e32 v2, vcc, v0, v2
	v_add_f32_e32 v16, v16, v26
	v_addc_co_u32_e32 v3, vcc, v1, v3, vcc
	v_mov_b32_e32 v7, v4
	global_store_dwordx2 v[2:3], v[15:16], off
	v_lshlrev_b64 v[2:3], 3, v[6:7]
	v_add_co_u32_e32 v0, vcc, v0, v2
	v_addc_co_u32_e32 v1, vcc, v1, v3, vcc
	global_store_dwordx2 v[0:1], v[18:19], off
.LBB0_20:
	s_endpgm
	.section	.rodata,"a",@progbits
	.p2align	6, 0x0
	.amdhsa_kernel fft_rtc_back_len1512_factors_2_2_2_3_3_3_7_wgs_63_tpt_63_halfLds_sp_op_CI_CI_sbrr_dirReg
		.amdhsa_group_segment_fixed_size 0
		.amdhsa_private_segment_fixed_size 0
		.amdhsa_kernarg_size 104
		.amdhsa_user_sgpr_count 6
		.amdhsa_user_sgpr_private_segment_buffer 1
		.amdhsa_user_sgpr_dispatch_ptr 0
		.amdhsa_user_sgpr_queue_ptr 0
		.amdhsa_user_sgpr_kernarg_segment_ptr 1
		.amdhsa_user_sgpr_dispatch_id 0
		.amdhsa_user_sgpr_flat_scratch_init 0
		.amdhsa_user_sgpr_private_segment_size 0
		.amdhsa_uses_dynamic_stack 0
		.amdhsa_system_sgpr_private_segment_wavefront_offset 0
		.amdhsa_system_sgpr_workgroup_id_x 1
		.amdhsa_system_sgpr_workgroup_id_y 0
		.amdhsa_system_sgpr_workgroup_id_z 0
		.amdhsa_system_sgpr_workgroup_info 0
		.amdhsa_system_vgpr_workitem_id 0
		.amdhsa_next_free_vgpr 116
		.amdhsa_next_free_sgpr 32
		.amdhsa_reserve_vcc 1
		.amdhsa_reserve_flat_scratch 0
		.amdhsa_float_round_mode_32 0
		.amdhsa_float_round_mode_16_64 0
		.amdhsa_float_denorm_mode_32 3
		.amdhsa_float_denorm_mode_16_64 3
		.amdhsa_dx10_clamp 1
		.amdhsa_ieee_mode 1
		.amdhsa_fp16_overflow 0
		.amdhsa_exception_fp_ieee_invalid_op 0
		.amdhsa_exception_fp_denorm_src 0
		.amdhsa_exception_fp_ieee_div_zero 0
		.amdhsa_exception_fp_ieee_overflow 0
		.amdhsa_exception_fp_ieee_underflow 0
		.amdhsa_exception_fp_ieee_inexact 0
		.amdhsa_exception_int_div_zero 0
	.end_amdhsa_kernel
	.text
.Lfunc_end0:
	.size	fft_rtc_back_len1512_factors_2_2_2_3_3_3_7_wgs_63_tpt_63_halfLds_sp_op_CI_CI_sbrr_dirReg, .Lfunc_end0-fft_rtc_back_len1512_factors_2_2_2_3_3_3_7_wgs_63_tpt_63_halfLds_sp_op_CI_CI_sbrr_dirReg
                                        ; -- End function
	.section	.AMDGPU.csdata,"",@progbits
; Kernel info:
; codeLenInByte = 17328
; NumSgprs: 36
; NumVgprs: 116
; ScratchSize: 0
; MemoryBound: 0
; FloatMode: 240
; IeeeMode: 1
; LDSByteSize: 0 bytes/workgroup (compile time only)
; SGPRBlocks: 4
; VGPRBlocks: 28
; NumSGPRsForWavesPerEU: 36
; NumVGPRsForWavesPerEU: 116
; Occupancy: 2
; WaveLimiterHint : 1
; COMPUTE_PGM_RSRC2:SCRATCH_EN: 0
; COMPUTE_PGM_RSRC2:USER_SGPR: 6
; COMPUTE_PGM_RSRC2:TRAP_HANDLER: 0
; COMPUTE_PGM_RSRC2:TGID_X_EN: 1
; COMPUTE_PGM_RSRC2:TGID_Y_EN: 0
; COMPUTE_PGM_RSRC2:TGID_Z_EN: 0
; COMPUTE_PGM_RSRC2:TIDIG_COMP_CNT: 0
	.type	__hip_cuid_e13b2e5aee567635,@object ; @__hip_cuid_e13b2e5aee567635
	.section	.bss,"aw",@nobits
	.globl	__hip_cuid_e13b2e5aee567635
__hip_cuid_e13b2e5aee567635:
	.byte	0                               ; 0x0
	.size	__hip_cuid_e13b2e5aee567635, 1

	.ident	"AMD clang version 19.0.0git (https://github.com/RadeonOpenCompute/llvm-project roc-6.4.0 25133 c7fe45cf4b819c5991fe208aaa96edf142730f1d)"
	.section	".note.GNU-stack","",@progbits
	.addrsig
	.addrsig_sym __hip_cuid_e13b2e5aee567635
	.amdgpu_metadata
---
amdhsa.kernels:
  - .args:
      - .actual_access:  read_only
        .address_space:  global
        .offset:         0
        .size:           8
        .value_kind:     global_buffer
      - .offset:         8
        .size:           8
        .value_kind:     by_value
      - .actual_access:  read_only
        .address_space:  global
        .offset:         16
        .size:           8
        .value_kind:     global_buffer
      - .actual_access:  read_only
        .address_space:  global
        .offset:         24
        .size:           8
        .value_kind:     global_buffer
      - .actual_access:  read_only
        .address_space:  global
        .offset:         32
        .size:           8
        .value_kind:     global_buffer
      - .offset:         40
        .size:           8
        .value_kind:     by_value
      - .actual_access:  read_only
        .address_space:  global
        .offset:         48
        .size:           8
        .value_kind:     global_buffer
      - .actual_access:  read_only
        .address_space:  global
        .offset:         56
        .size:           8
        .value_kind:     global_buffer
      - .offset:         64
        .size:           4
        .value_kind:     by_value
      - .actual_access:  read_only
        .address_space:  global
        .offset:         72
        .size:           8
        .value_kind:     global_buffer
      - .actual_access:  read_only
        .address_space:  global
        .offset:         80
        .size:           8
        .value_kind:     global_buffer
      - .actual_access:  read_only
        .address_space:  global
        .offset:         88
        .size:           8
        .value_kind:     global_buffer
      - .actual_access:  write_only
        .address_space:  global
        .offset:         96
        .size:           8
        .value_kind:     global_buffer
    .group_segment_fixed_size: 0
    .kernarg_segment_align: 8
    .kernarg_segment_size: 104
    .language:       OpenCL C
    .language_version:
      - 2
      - 0
    .max_flat_workgroup_size: 63
    .name:           fft_rtc_back_len1512_factors_2_2_2_3_3_3_7_wgs_63_tpt_63_halfLds_sp_op_CI_CI_sbrr_dirReg
    .private_segment_fixed_size: 0
    .sgpr_count:     36
    .sgpr_spill_count: 0
    .symbol:         fft_rtc_back_len1512_factors_2_2_2_3_3_3_7_wgs_63_tpt_63_halfLds_sp_op_CI_CI_sbrr_dirReg.kd
    .uniform_work_group_size: 1
    .uses_dynamic_stack: false
    .vgpr_count:     116
    .vgpr_spill_count: 0
    .wavefront_size: 64
amdhsa.target:   amdgcn-amd-amdhsa--gfx906
amdhsa.version:
  - 1
  - 2
...

	.end_amdgpu_metadata
